;; amdgpu-corpus repo=ROCm/hip-tests kind=compiled arch=gfx942 opt=O3
	.text
	.amdgcn_target "amdgcn-amd-amdhsa--gfx942"
	.amdhsa_code_object_version 6
	.section	.text._Z24cvt_float_fp8_float_fnuzIfLb1EEvPT_m,"axG",@progbits,_Z24cvt_float_fp8_float_fnuzIfLb1EEvPT_m,comdat
	.protected	_Z24cvt_float_fp8_float_fnuzIfLb1EEvPT_m ; -- Begin function _Z24cvt_float_fp8_float_fnuzIfLb1EEvPT_m
	.globl	_Z24cvt_float_fp8_float_fnuzIfLb1EEvPT_m
	.p2align	8
	.type	_Z24cvt_float_fp8_float_fnuzIfLb1EEvPT_m,@function
_Z24cvt_float_fp8_float_fnuzIfLb1EEvPT_m: ; @_Z24cvt_float_fp8_float_fnuzIfLb1EEvPT_m
; %bb.0:
	s_load_dwordx4 s[0:3], s[0:1], 0x0
	v_mov_b32_e32 v1, 0
	s_waitcnt lgkmcnt(0)
	v_cmp_gt_u64_e32 vcc, s[2:3], v[0:1]
	s_and_saveexec_b64 s[2:3], vcc
	s_cbranch_execz .LBB0_2
; %bb.1:
	v_lshlrev_b32_e32 v0, 2, v0
	global_load_dword v2, v0, s[0:1]
	s_mov_b32 s2, 0x7f800000
	s_mov_b32 s3, 0x43700000
	v_mov_b32_e32 v3, 0xc3700000
	s_waitcnt vmcnt(0)
	v_med3_f32 v3, v2, s3, v3
	v_cmp_nlg_f32_e64 vcc, |v2|, s2
	s_nop 1
	v_cndmask_b32_e32 v2, v3, v2, vcc
	v_cvt_pk_fp8_f32 v1, v2, v2
	v_and_b32_e32 v1, 0xff, v1
	v_cvt_f32_fp8_sdwa v1, v1 src0_sel:BYTE_0
	global_store_dword v0, v1, s[0:1]
.LBB0_2:
	s_endpgm
	.section	.rodata,"a",@progbits
	.p2align	6, 0x0
	.amdhsa_kernel _Z24cvt_float_fp8_float_fnuzIfLb1EEvPT_m
		.amdhsa_group_segment_fixed_size 0
		.amdhsa_private_segment_fixed_size 0
		.amdhsa_kernarg_size 16
		.amdhsa_user_sgpr_count 2
		.amdhsa_user_sgpr_dispatch_ptr 0
		.amdhsa_user_sgpr_queue_ptr 0
		.amdhsa_user_sgpr_kernarg_segment_ptr 1
		.amdhsa_user_sgpr_dispatch_id 0
		.amdhsa_user_sgpr_kernarg_preload_length 0
		.amdhsa_user_sgpr_kernarg_preload_offset 0
		.amdhsa_user_sgpr_private_segment_size 0
		.amdhsa_uses_dynamic_stack 0
		.amdhsa_enable_private_segment 0
		.amdhsa_system_sgpr_workgroup_id_x 1
		.amdhsa_system_sgpr_workgroup_id_y 0
		.amdhsa_system_sgpr_workgroup_id_z 0
		.amdhsa_system_sgpr_workgroup_info 0
		.amdhsa_system_vgpr_workitem_id 0
		.amdhsa_next_free_vgpr 4
		.amdhsa_next_free_sgpr 4
		.amdhsa_accum_offset 4
		.amdhsa_reserve_vcc 1
		.amdhsa_float_round_mode_32 0
		.amdhsa_float_round_mode_16_64 0
		.amdhsa_float_denorm_mode_32 3
		.amdhsa_float_denorm_mode_16_64 3
		.amdhsa_dx10_clamp 1
		.amdhsa_ieee_mode 1
		.amdhsa_fp16_overflow 0
		.amdhsa_tg_split 0
		.amdhsa_exception_fp_ieee_invalid_op 0
		.amdhsa_exception_fp_denorm_src 0
		.amdhsa_exception_fp_ieee_div_zero 0
		.amdhsa_exception_fp_ieee_overflow 0
		.amdhsa_exception_fp_ieee_underflow 0
		.amdhsa_exception_fp_ieee_inexact 0
		.amdhsa_exception_int_div_zero 0
	.end_amdhsa_kernel
	.section	.text._Z24cvt_float_fp8_float_fnuzIfLb1EEvPT_m,"axG",@progbits,_Z24cvt_float_fp8_float_fnuzIfLb1EEvPT_m,comdat
.Lfunc_end0:
	.size	_Z24cvt_float_fp8_float_fnuzIfLb1EEvPT_m, .Lfunc_end0-_Z24cvt_float_fp8_float_fnuzIfLb1EEvPT_m
                                        ; -- End function
	.section	.AMDGPU.csdata,"",@progbits
; Kernel info:
; codeLenInByte = 128
; NumSgprs: 10
; NumVgprs: 4
; NumAgprs: 0
; TotalNumVgprs: 4
; ScratchSize: 0
; MemoryBound: 0
; FloatMode: 240
; IeeeMode: 1
; LDSByteSize: 0 bytes/workgroup (compile time only)
; SGPRBlocks: 1
; VGPRBlocks: 0
; NumSGPRsForWavesPerEU: 10
; NumVGPRsForWavesPerEU: 4
; AccumOffset: 4
; Occupancy: 8
; WaveLimiterHint : 0
; COMPUTE_PGM_RSRC2:SCRATCH_EN: 0
; COMPUTE_PGM_RSRC2:USER_SGPR: 2
; COMPUTE_PGM_RSRC2:TRAP_HANDLER: 0
; COMPUTE_PGM_RSRC2:TGID_X_EN: 1
; COMPUTE_PGM_RSRC2:TGID_Y_EN: 0
; COMPUTE_PGM_RSRC2:TGID_Z_EN: 0
; COMPUTE_PGM_RSRC2:TIDIG_COMP_CNT: 0
; COMPUTE_PGM_RSRC3_GFX90A:ACCUM_OFFSET: 0
; COMPUTE_PGM_RSRC3_GFX90A:TG_SPLIT: 0
	.section	.text._Z24cvt_float_fp8_float_fnuzIfLb0EEvPT_m,"axG",@progbits,_Z24cvt_float_fp8_float_fnuzIfLb0EEvPT_m,comdat
	.protected	_Z24cvt_float_fp8_float_fnuzIfLb0EEvPT_m ; -- Begin function _Z24cvt_float_fp8_float_fnuzIfLb0EEvPT_m
	.globl	_Z24cvt_float_fp8_float_fnuzIfLb0EEvPT_m
	.p2align	8
	.type	_Z24cvt_float_fp8_float_fnuzIfLb0EEvPT_m,@function
_Z24cvt_float_fp8_float_fnuzIfLb0EEvPT_m: ; @_Z24cvt_float_fp8_float_fnuzIfLb0EEvPT_m
; %bb.0:
	s_load_dwordx4 s[0:3], s[0:1], 0x0
	v_mov_b32_e32 v1, 0
	s_waitcnt lgkmcnt(0)
	v_cmp_gt_u64_e32 vcc, s[2:3], v[0:1]
	s_and_saveexec_b64 s[2:3], vcc
	s_cbranch_execz .LBB1_2
; %bb.1:
	v_lshlrev_b32_e32 v0, 2, v0
	global_load_dword v2, v0, s[0:1]
	s_mov_b32 s2, 0x7f800000
	s_mov_b32 s3, 0x47600000
	v_mov_b32_e32 v3, 0xc7600000
	s_waitcnt vmcnt(0)
	v_med3_f32 v3, v2, s3, v3
	v_cmp_nlg_f32_e64 vcc, |v2|, s2
	s_nop 1
	v_cndmask_b32_e32 v2, v3, v2, vcc
	v_cvt_pk_bf8_f32 v1, v2, v2
	v_and_b32_e32 v1, 0xff, v1
	v_cvt_f32_bf8_sdwa v1, v1 src0_sel:BYTE_0
	global_store_dword v0, v1, s[0:1]
.LBB1_2:
	s_endpgm
	.section	.rodata,"a",@progbits
	.p2align	6, 0x0
	.amdhsa_kernel _Z24cvt_float_fp8_float_fnuzIfLb0EEvPT_m
		.amdhsa_group_segment_fixed_size 0
		.amdhsa_private_segment_fixed_size 0
		.amdhsa_kernarg_size 16
		.amdhsa_user_sgpr_count 2
		.amdhsa_user_sgpr_dispatch_ptr 0
		.amdhsa_user_sgpr_queue_ptr 0
		.amdhsa_user_sgpr_kernarg_segment_ptr 1
		.amdhsa_user_sgpr_dispatch_id 0
		.amdhsa_user_sgpr_kernarg_preload_length 0
		.amdhsa_user_sgpr_kernarg_preload_offset 0
		.amdhsa_user_sgpr_private_segment_size 0
		.amdhsa_uses_dynamic_stack 0
		.amdhsa_enable_private_segment 0
		.amdhsa_system_sgpr_workgroup_id_x 1
		.amdhsa_system_sgpr_workgroup_id_y 0
		.amdhsa_system_sgpr_workgroup_id_z 0
		.amdhsa_system_sgpr_workgroup_info 0
		.amdhsa_system_vgpr_workitem_id 0
		.amdhsa_next_free_vgpr 4
		.amdhsa_next_free_sgpr 4
		.amdhsa_accum_offset 4
		.amdhsa_reserve_vcc 1
		.amdhsa_float_round_mode_32 0
		.amdhsa_float_round_mode_16_64 0
		.amdhsa_float_denorm_mode_32 3
		.amdhsa_float_denorm_mode_16_64 3
		.amdhsa_dx10_clamp 1
		.amdhsa_ieee_mode 1
		.amdhsa_fp16_overflow 0
		.amdhsa_tg_split 0
		.amdhsa_exception_fp_ieee_invalid_op 0
		.amdhsa_exception_fp_denorm_src 0
		.amdhsa_exception_fp_ieee_div_zero 0
		.amdhsa_exception_fp_ieee_overflow 0
		.amdhsa_exception_fp_ieee_underflow 0
		.amdhsa_exception_fp_ieee_inexact 0
		.amdhsa_exception_int_div_zero 0
	.end_amdhsa_kernel
	.section	.text._Z24cvt_float_fp8_float_fnuzIfLb0EEvPT_m,"axG",@progbits,_Z24cvt_float_fp8_float_fnuzIfLb0EEvPT_m,comdat
.Lfunc_end1:
	.size	_Z24cvt_float_fp8_float_fnuzIfLb0EEvPT_m, .Lfunc_end1-_Z24cvt_float_fp8_float_fnuzIfLb0EEvPT_m
                                        ; -- End function
	.section	.AMDGPU.csdata,"",@progbits
; Kernel info:
; codeLenInByte = 128
; NumSgprs: 10
; NumVgprs: 4
; NumAgprs: 0
; TotalNumVgprs: 4
; ScratchSize: 0
; MemoryBound: 0
; FloatMode: 240
; IeeeMode: 1
; LDSByteSize: 0 bytes/workgroup (compile time only)
; SGPRBlocks: 1
; VGPRBlocks: 0
; NumSGPRsForWavesPerEU: 10
; NumVGPRsForWavesPerEU: 4
; AccumOffset: 4
; Occupancy: 8
; WaveLimiterHint : 0
; COMPUTE_PGM_RSRC2:SCRATCH_EN: 0
; COMPUTE_PGM_RSRC2:USER_SGPR: 2
; COMPUTE_PGM_RSRC2:TRAP_HANDLER: 0
; COMPUTE_PGM_RSRC2:TGID_X_EN: 1
; COMPUTE_PGM_RSRC2:TGID_Y_EN: 0
; COMPUTE_PGM_RSRC2:TGID_Z_EN: 0
; COMPUTE_PGM_RSRC2:TIDIG_COMP_CNT: 0
; COMPUTE_PGM_RSRC3_GFX90A:ACCUM_OFFSET: 0
; COMPUTE_PGM_RSRC3_GFX90A:TG_SPLIT: 0
	.section	.text._Z24cvt_float_fp8_float_fnuzIdLb1EEvPT_m,"axG",@progbits,_Z24cvt_float_fp8_float_fnuzIdLb1EEvPT_m,comdat
	.protected	_Z24cvt_float_fp8_float_fnuzIdLb1EEvPT_m ; -- Begin function _Z24cvt_float_fp8_float_fnuzIdLb1EEvPT_m
	.globl	_Z24cvt_float_fp8_float_fnuzIdLb1EEvPT_m
	.p2align	8
	.type	_Z24cvt_float_fp8_float_fnuzIdLb1EEvPT_m,@function
_Z24cvt_float_fp8_float_fnuzIdLb1EEvPT_m: ; @_Z24cvt_float_fp8_float_fnuzIdLb1EEvPT_m
; %bb.0:
	s_load_dwordx4 s[4:7], s[0:1], 0x0
	v_mov_b32_e32 v1, 0
	s_waitcnt lgkmcnt(0)
	v_cmp_gt_u64_e32 vcc, s[6:7], v[0:1]
	s_and_saveexec_b64 s[0:1], vcc
	s_cbranch_execz .LBB2_20
; %bb.1:
	v_lshlrev_b32_e32 v0, 3, v0
	global_load_dwordx2 v[2:3], v0, s[4:5]
	s_mov_b32 s0, 0
	s_mov_b32 s1, 0x7ff00000
	v_mov_b32_e32 v4, v1
	s_waitcnt vmcnt(0)
	v_and_b32_e32 v5, 0x7ff00000, v3
	v_cmp_ne_u64_e32 vcc, s[0:1], v[4:5]
                                        ; implicit-def: $vgpr4
	s_and_saveexec_b64 s[0:1], vcc
	s_xor_b64 s[2:3], exec, s[0:1]
	s_cbranch_execz .LBB2_13
; %bb.2:
	s_mov_b32 s0, 1
	v_and_b32_e32 v5, 0x7fffffff, v3
	v_mov_b32_e32 v4, v2
	s_mov_b32 s1, 0x406e0000
	v_cmp_gt_u64_e32 vcc, s[0:1], v[4:5]
                                        ; implicit-def: $vgpr4
	s_and_saveexec_b64 s[0:1], vcc
	s_xor_b64 s[6:7], exec, s[0:1]
	s_cbranch_execz .LBB2_10
; %bb.3:
	v_cmp_ne_u64_e32 vcc, 0, v[2:3]
	v_mov_b32_e32 v4, 0
	s_and_saveexec_b64 s[8:9], vcc
	s_cbranch_execz .LBB2_9
; %bb.4:
	v_bfe_u32 v5, v3, 20, 11
	s_movk_i32 s0, 0x3f8
	v_and_b32_e32 v4, 0xfffff, v3
	v_sub_u32_e64 v6, s0, v5 clamp
	v_mov_b32_e32 v8, 0x3f7
	v_cmp_eq_u32_e32 vcc, 0, v5
	v_or_b32_e32 v7, 0x100000, v4
	v_add_u32_e32 v10, 0xfffffc09, v5
	v_cndmask_b32_e32 v11, v6, v8, vcc
	v_cndmask_b32_e32 v5, v7, v4, vcc
	v_mov_b32_e32 v4, v2
	v_add_u32_e32 v2, 49, v11
	v_lshlrev_b64 v[6:7], v2, -1
	v_not_b32_e32 v2, v7
	v_not_b32_e32 v6, v6
	v_and_b32_e32 v7, v5, v2
	v_add_u32_e32 v2, 48, v11
	v_and_b32_e32 v6, v4, v6
	v_lshlrev_b64 v[8:9], v2, 1
	v_lshrrev_b64 v[4:5], v11, v[4:5]
	v_mov_b32_e32 v2, 0xfffffc0a
	v_cmp_eq_u64_e64 s[0:1], v[6:7], v[8:9]
	v_cndmask_b32_e32 v2, v10, v2, vcc
	v_lshrrev_b32_e32 v6, 20, v5
	v_add3_u32 v8, v2, v11, v6
	v_and_b32_e32 v7, 0x20000, v5
	v_mov_b32_e32 v6, 0
	v_cmp_eq_u64_e32 vcc, 0, v[6:7]
	s_and_b64 s[0:1], vcc, s[0:1]
	v_cndmask_b32_e64 v2, 0, 1, s[0:1]
	v_sub_co_u32_e32 v10, vcc, v4, v2
	v_add_u32_e32 v9, -1, v8
	s_nop 0
	v_subbrev_co_u32_e32 v2, vcc, 0, v5, vcc
	v_and_b32_e32 v11, 0x1ffff, v2
	v_lshl_add_u64 v[4:5], v[10:11], 0, v[4:5]
	v_cmp_ne_u32_e32 vcc, 0, v9
                                        ; implicit-def: $vgpr2
	s_and_saveexec_b64 s[0:1], vcc
	s_xor_b64 s[0:1], exec, s[0:1]
; %bb.5:
	v_and_b32_e32 v7, 0x200000, v5
	v_cmp_eq_u64_e32 vcc, 0, v[6:7]
	v_bfe_u32 v6, v5, 21, 1
	v_lshrrev_b64 v[4:5], v6, v[4:5]
	v_cndmask_b32_e32 v2, v8, v9, vcc
; %bb.6:
	s_andn2_saveexec_b64 s[0:1], s[0:1]
; %bb.7:
	v_bfe_u32 v2, v5, 20, 1
; %bb.8:
	s_or_b64 exec, exec, s[0:1]
	s_movk_i32 s0, 0x80
	v_lshrrev_b32_e32 v4, 17, v5
	v_cmp_gt_i32_e32 vcc, 16, v2
	v_and_b32_sdwa v3, v3, s0 dst_sel:DWORD dst_unused:UNUSED_PAD src0_sel:BYTE_3 src1_sel:DWORD
	v_min_i32_e32 v6, 15, v2
	v_cndmask_b32_e32 v4, 7, v4, vcc
	v_mov_b32_e32 v5, 0
	v_cmp_eq_u32_e32 vcc, 0, v2
	v_cmp_eq_u64_e64 s[0:1], 0, v[4:5]
	v_lshl_or_b32 v2, v6, 3, v3
	v_and_or_b32 v2, v4, 7, v2
	s_and_b64 s[0:1], vcc, s[0:1]
	v_cndmask_b32_e64 v4, v2, 0, s[0:1]
.LBB2_9:
	s_or_b64 exec, exec, s[8:9]
                                        ; implicit-def: $vgpr2_vgpr3
.LBB2_10:
	s_andn2_saveexec_b64 s[0:1], s[6:7]
; %bb.11:
	s_movk_i32 s6, 0x7f
	v_or_b32_sdwa v4, v3, s6 dst_sel:DWORD dst_unused:UNUSED_PAD src0_sel:BYTE_3 src1_sel:DWORD
; %bb.12:
	s_or_b64 exec, exec, s[0:1]
                                        ; implicit-def: $vgpr2_vgpr3
.LBB2_13:
	s_andn2_saveexec_b64 s[0:1], s[2:3]
; %bb.14:
	v_lshrrev_b32_e32 v4, 24, v3
; %bb.15:
	s_or_b64 exec, exec, s[0:1]
	s_movk_i32 s0, 0x7f
	v_lshl_add_u64 v[0:1], s[4:5], 0, v[0:1]
	v_cmp_gt_i16_sdwa s[4:5], v4, s0 src0_sel:BYTE_0 src1_sel:DWORD
	s_mov_b64 s[0:1], 0
                                        ; implicit-def: $sgpr2_sgpr3
	s_and_saveexec_b64 s[6:7], s[4:5]
	s_xor_b64 s[4:5], exec, s[6:7]
	s_cbranch_execnz .LBB2_21
; %bb.16:
	s_or_saveexec_b64 s[4:5], s[4:5]
	v_mov_b64_e32 v[2:3], s[2:3]
	s_xor_b64 exec, exec, s[4:5]
	s_cbranch_execnz .LBB2_24
.LBB2_17:
	s_or_b64 exec, exec, s[4:5]
	s_and_saveexec_b64 s[2:3], s[0:1]
	s_cbranch_execz .LBB2_19
.LBB2_18:
	v_and_b32_e32 v2, 7, v4
	v_ffbh_u32_e32 v6, v2
	v_min_u32_e32 v8, 32, v6
	v_lshrrev_b16_e32 v5, 3, v4
	v_mov_b32_e32 v3, 0
	v_subrev_u32_e32 v6, 28, v8
	v_and_b32_e32 v5, 15, v5
	v_lshlrev_b64 v[6:7], v6, v[2:3]
	v_sub_u32_e32 v3, 29, v8
	v_and_b32_e32 v6, 7, v6
	v_cmp_eq_u32_e32 vcc, 0, v5
	v_lshlrev_b32_e32 v4, 24, v4
	v_and_b32_e32 v4, 0x80000000, v4
	v_cndmask_b32_e32 v3, v5, v3, vcc
	v_cndmask_b32_e32 v2, v2, v6, vcc
	v_mov_b32_e32 v5, 0x3f700000
	v_lshlrev_b32_e32 v2, 17, v2
	v_lshl_add_u32 v3, v3, 20, v5
	v_or3_b32 v3, v3, v4, v2
	v_or3_b32 v2, 0, 0, 0
.LBB2_19:
	s_or_b64 exec, exec, s[2:3]
	global_store_dwordx2 v[0:1], v[2:3], off
.LBB2_20:
	s_endpgm
.LBB2_21:
	s_movk_i32 s0, 0x80
	v_cmp_eq_u16_sdwa s[8:9], v4, s0 src0_sel:BYTE_0 src1_sel:DWORD
	s_mov_b64 s[6:7], -1
                                        ; implicit-def: $sgpr2_sgpr3
	s_and_saveexec_b64 s[0:1], s[8:9]
; %bb.22:
	s_mov_b32 s3, 0x7ff00000
	s_mov_b32 s2, 1
	s_xor_b64 s[6:7], exec, -1
; %bb.23:
	s_or_b64 exec, exec, s[0:1]
	s_and_b64 s[0:1], s[6:7], exec
	s_or_saveexec_b64 s[4:5], s[4:5]
	v_mov_b64_e32 v[2:3], s[2:3]
	s_xor_b64 exec, exec, s[4:5]
	s_cbranch_execz .LBB2_17
.LBB2_24:
	s_mov_b32 s2, 0xffff
	v_and_b32_sdwa v2, s2, v4 dst_sel:DWORD dst_unused:UNUSED_PAD src0_sel:DWORD src1_sel:BYTE_0
	s_mov_b32 s2, 0
	v_mov_b32_e32 v5, 0
	v_mov_b32_e32 v3, s2
	v_cmp_ne_u16_sdwa s[2:3], v4, v5 src0_sel:BYTE_0 src1_sel:DWORD
	s_andn2_b64 s[0:1], s[0:1], exec
	s_and_b64 s[2:3], s[2:3], exec
	s_or_b64 s[0:1], s[0:1], s[2:3]
	s_or_b64 exec, exec, s[4:5]
	s_and_saveexec_b64 s[2:3], s[0:1]
	s_cbranch_execnz .LBB2_18
	s_branch .LBB2_19
	.section	.rodata,"a",@progbits
	.p2align	6, 0x0
	.amdhsa_kernel _Z24cvt_float_fp8_float_fnuzIdLb1EEvPT_m
		.amdhsa_group_segment_fixed_size 0
		.amdhsa_private_segment_fixed_size 0
		.amdhsa_kernarg_size 16
		.amdhsa_user_sgpr_count 2
		.amdhsa_user_sgpr_dispatch_ptr 0
		.amdhsa_user_sgpr_queue_ptr 0
		.amdhsa_user_sgpr_kernarg_segment_ptr 1
		.amdhsa_user_sgpr_dispatch_id 0
		.amdhsa_user_sgpr_kernarg_preload_length 0
		.amdhsa_user_sgpr_kernarg_preload_offset 0
		.amdhsa_user_sgpr_private_segment_size 0
		.amdhsa_uses_dynamic_stack 0
		.amdhsa_enable_private_segment 0
		.amdhsa_system_sgpr_workgroup_id_x 1
		.amdhsa_system_sgpr_workgroup_id_y 0
		.amdhsa_system_sgpr_workgroup_id_z 0
		.amdhsa_system_sgpr_workgroup_info 0
		.amdhsa_system_vgpr_workitem_id 0
		.amdhsa_next_free_vgpr 12
		.amdhsa_next_free_sgpr 10
		.amdhsa_accum_offset 12
		.amdhsa_reserve_vcc 1
		.amdhsa_float_round_mode_32 0
		.amdhsa_float_round_mode_16_64 0
		.amdhsa_float_denorm_mode_32 3
		.amdhsa_float_denorm_mode_16_64 3
		.amdhsa_dx10_clamp 1
		.amdhsa_ieee_mode 1
		.amdhsa_fp16_overflow 0
		.amdhsa_tg_split 0
		.amdhsa_exception_fp_ieee_invalid_op 0
		.amdhsa_exception_fp_denorm_src 0
		.amdhsa_exception_fp_ieee_div_zero 0
		.amdhsa_exception_fp_ieee_overflow 0
		.amdhsa_exception_fp_ieee_underflow 0
		.amdhsa_exception_fp_ieee_inexact 0
		.amdhsa_exception_int_div_zero 0
	.end_amdhsa_kernel
	.section	.text._Z24cvt_float_fp8_float_fnuzIdLb1EEvPT_m,"axG",@progbits,_Z24cvt_float_fp8_float_fnuzIdLb1EEvPT_m,comdat
.Lfunc_end2:
	.size	_Z24cvt_float_fp8_float_fnuzIdLb1EEvPT_m, .Lfunc_end2-_Z24cvt_float_fp8_float_fnuzIdLb1EEvPT_m
                                        ; -- End function
	.section	.AMDGPU.csdata,"",@progbits
; Kernel info:
; codeLenInByte = 824
; NumSgprs: 16
; NumVgprs: 12
; NumAgprs: 0
; TotalNumVgprs: 12
; ScratchSize: 0
; MemoryBound: 0
; FloatMode: 240
; IeeeMode: 1
; LDSByteSize: 0 bytes/workgroup (compile time only)
; SGPRBlocks: 1
; VGPRBlocks: 1
; NumSGPRsForWavesPerEU: 16
; NumVGPRsForWavesPerEU: 12
; AccumOffset: 12
; Occupancy: 8
; WaveLimiterHint : 0
; COMPUTE_PGM_RSRC2:SCRATCH_EN: 0
; COMPUTE_PGM_RSRC2:USER_SGPR: 2
; COMPUTE_PGM_RSRC2:TRAP_HANDLER: 0
; COMPUTE_PGM_RSRC2:TGID_X_EN: 1
; COMPUTE_PGM_RSRC2:TGID_Y_EN: 0
; COMPUTE_PGM_RSRC2:TGID_Z_EN: 0
; COMPUTE_PGM_RSRC2:TIDIG_COMP_CNT: 0
; COMPUTE_PGM_RSRC3_GFX90A:ACCUM_OFFSET: 2
; COMPUTE_PGM_RSRC3_GFX90A:TG_SPLIT: 0
	.section	.text._Z24cvt_float_fp8_float_fnuzIdLb0EEvPT_m,"axG",@progbits,_Z24cvt_float_fp8_float_fnuzIdLb0EEvPT_m,comdat
	.protected	_Z24cvt_float_fp8_float_fnuzIdLb0EEvPT_m ; -- Begin function _Z24cvt_float_fp8_float_fnuzIdLb0EEvPT_m
	.globl	_Z24cvt_float_fp8_float_fnuzIdLb0EEvPT_m
	.p2align	8
	.type	_Z24cvt_float_fp8_float_fnuzIdLb0EEvPT_m,@function
_Z24cvt_float_fp8_float_fnuzIdLb0EEvPT_m: ; @_Z24cvt_float_fp8_float_fnuzIdLb0EEvPT_m
; %bb.0:
	s_load_dwordx4 s[4:7], s[0:1], 0x0
	v_mov_b32_e32 v1, 0
	s_waitcnt lgkmcnt(0)
	v_cmp_gt_u64_e32 vcc, s[6:7], v[0:1]
	s_and_saveexec_b64 s[0:1], vcc
	s_cbranch_execz .LBB3_20
; %bb.1:
	v_lshlrev_b32_e32 v0, 3, v0
	global_load_dwordx2 v[2:3], v0, s[4:5]
	s_mov_b32 s0, 0
	s_mov_b32 s1, 0x7ff00000
	v_mov_b32_e32 v4, v1
	s_waitcnt vmcnt(0)
	v_and_b32_e32 v5, 0x7ff00000, v3
	v_cmp_ne_u64_e32 vcc, s[0:1], v[4:5]
                                        ; implicit-def: $vgpr4
	s_and_saveexec_b64 s[0:1], vcc
	s_xor_b64 s[2:3], exec, s[0:1]
	s_cbranch_execz .LBB3_13
; %bb.2:
	s_mov_b32 s0, 1
	v_and_b32_e32 v5, 0x7fffffff, v3
	v_mov_b32_e32 v4, v2
	s_mov_b32 s1, 0x40ec0000
	v_cmp_gt_u64_e32 vcc, s[0:1], v[4:5]
                                        ; implicit-def: $vgpr4
	s_and_saveexec_b64 s[0:1], vcc
	s_xor_b64 s[6:7], exec, s[0:1]
	s_cbranch_execz .LBB3_10
; %bb.3:
	v_cmp_ne_u64_e32 vcc, 0, v[2:3]
	v_mov_b32_e32 v4, 0
	s_and_saveexec_b64 s[8:9], vcc
	s_cbranch_execz .LBB3_9
; %bb.4:
	v_bfe_u32 v5, v3, 20, 11
	s_movk_i32 s0, 0x3f0
	v_and_b32_e32 v4, 0xfffff, v3
	v_sub_u32_e64 v6, s0, v5 clamp
	v_mov_b32_e32 v8, 0x3ef
	v_cmp_eq_u32_e32 vcc, 0, v5
	v_or_b32_e32 v7, 0x100000, v4
	v_add_u32_e32 v10, 0xfffffc11, v5
	v_cndmask_b32_e32 v11, v6, v8, vcc
	v_cndmask_b32_e32 v5, v7, v4, vcc
	v_mov_b32_e32 v4, v2
	v_add_u32_e32 v2, 50, v11
	v_lshlrev_b64 v[6:7], v2, -1
	v_not_b32_e32 v2, v7
	v_not_b32_e32 v6, v6
	v_and_b32_e32 v7, v5, v2
	v_add_u32_e32 v2, 49, v11
	v_and_b32_e32 v6, v4, v6
	v_lshlrev_b64 v[8:9], v2, 1
	v_lshrrev_b64 v[4:5], v11, v[4:5]
	v_mov_b32_e32 v2, 0xfffffc12
	v_cmp_eq_u64_e64 s[0:1], v[6:7], v[8:9]
	v_cndmask_b32_e32 v2, v10, v2, vcc
	v_lshrrev_b32_e32 v6, 20, v5
	v_add3_u32 v8, v2, v11, v6
	v_and_b32_e32 v7, 0x40000, v5
	v_mov_b32_e32 v6, 0
	v_cmp_eq_u64_e32 vcc, 0, v[6:7]
	s_and_b64 s[0:1], vcc, s[0:1]
	v_cndmask_b32_e64 v2, 0, 1, s[0:1]
	v_sub_co_u32_e32 v10, vcc, v4, v2
	v_add_u32_e32 v9, -1, v8
	s_nop 0
	v_subbrev_co_u32_e32 v2, vcc, 0, v5, vcc
	v_and_b32_e32 v11, 0x3ffff, v2
	v_lshl_add_u64 v[4:5], v[10:11], 0, v[4:5]
	v_cmp_ne_u32_e32 vcc, 0, v9
                                        ; implicit-def: $vgpr2
	s_and_saveexec_b64 s[0:1], vcc
	s_xor_b64 s[0:1], exec, s[0:1]
; %bb.5:
	v_and_b32_e32 v7, 0x200000, v5
	v_cmp_eq_u64_e32 vcc, 0, v[6:7]
	v_bfe_u32 v6, v5, 21, 1
	v_lshrrev_b64 v[4:5], v6, v[4:5]
	v_cndmask_b32_e32 v2, v8, v9, vcc
; %bb.6:
	s_andn2_saveexec_b64 s[0:1], s[0:1]
; %bb.7:
	v_bfe_u32 v2, v5, 20, 1
; %bb.8:
	s_or_b64 exec, exec, s[0:1]
	s_movk_i32 s0, 0x80
	v_lshrrev_b32_e32 v4, 18, v5
	v_cmp_gt_i32_e32 vcc, 32, v2
	v_and_b32_sdwa v3, v3, s0 dst_sel:DWORD dst_unused:UNUSED_PAD src0_sel:BYTE_3 src1_sel:DWORD
	v_min_i32_e32 v6, 31, v2
	v_cndmask_b32_e32 v4, 3, v4, vcc
	v_mov_b32_e32 v5, 0
	v_cmp_eq_u32_e32 vcc, 0, v2
	v_cmp_eq_u64_e64 s[0:1], 0, v[4:5]
	v_lshl_or_b32 v2, v6, 2, v3
	v_and_or_b32 v2, v4, 3, v2
	s_and_b64 s[0:1], vcc, s[0:1]
	v_cndmask_b32_e64 v4, v2, 0, s[0:1]
.LBB3_9:
	s_or_b64 exec, exec, s[8:9]
                                        ; implicit-def: $vgpr2_vgpr3
.LBB3_10:
	s_andn2_saveexec_b64 s[0:1], s[6:7]
; %bb.11:
	s_movk_i32 s6, 0x7f
	v_or_b32_sdwa v4, v3, s6 dst_sel:DWORD dst_unused:UNUSED_PAD src0_sel:BYTE_3 src1_sel:DWORD
; %bb.12:
	s_or_b64 exec, exec, s[0:1]
                                        ; implicit-def: $vgpr2_vgpr3
.LBB3_13:
	s_andn2_saveexec_b64 s[0:1], s[2:3]
; %bb.14:
	v_lshrrev_b32_e32 v4, 24, v3
; %bb.15:
	s_or_b64 exec, exec, s[0:1]
	s_movk_i32 s0, 0x7f
	v_lshl_add_u64 v[0:1], s[4:5], 0, v[0:1]
	v_cmp_gt_i16_sdwa s[4:5], v4, s0 src0_sel:BYTE_0 src1_sel:DWORD
	s_mov_b64 s[0:1], 0
                                        ; implicit-def: $sgpr2_sgpr3
	s_and_saveexec_b64 s[6:7], s[4:5]
	s_xor_b64 s[4:5], exec, s[6:7]
	s_cbranch_execnz .LBB3_21
; %bb.16:
	s_or_saveexec_b64 s[4:5], s[4:5]
	v_mov_b64_e32 v[2:3], s[2:3]
	s_xor_b64 exec, exec, s[4:5]
	s_cbranch_execnz .LBB3_24
.LBB3_17:
	s_or_b64 exec, exec, s[4:5]
	s_and_saveexec_b64 s[2:3], s[0:1]
	s_cbranch_execz .LBB3_19
.LBB3_18:
	v_and_b32_e32 v2, 3, v4
	v_ffbh_u32_e32 v6, v2
	v_min_u32_e32 v8, 32, v6
	v_lshrrev_b16_e32 v5, 2, v4
	v_mov_b32_e32 v3, 0
	v_subrev_u32_e32 v6, 29, v8
	v_and_b32_e32 v5, 31, v5
	v_lshlrev_b64 v[6:7], v6, v[2:3]
	v_sub_u32_e32 v3, 30, v8
	v_and_b32_e32 v6, 3, v6
	v_cmp_eq_u32_e32 vcc, 0, v5
	v_lshlrev_b32_e32 v4, 24, v4
	v_and_b32_e32 v4, 0x80000000, v4
	v_cndmask_b32_e32 v3, v5, v3, vcc
	v_cndmask_b32_e32 v2, v2, v6, vcc
	v_mov_b32_e32 v5, 0x3ef00000
	v_lshlrev_b32_e32 v2, 18, v2
	v_lshl_add_u32 v3, v3, 20, v5
	v_or3_b32 v3, v3, v4, v2
	v_or3_b32 v2, 0, 0, 0
.LBB3_19:
	s_or_b64 exec, exec, s[2:3]
	global_store_dwordx2 v[0:1], v[2:3], off
.LBB3_20:
	s_endpgm
.LBB3_21:
	s_movk_i32 s0, 0x80
	v_cmp_eq_u16_sdwa s[8:9], v4, s0 src0_sel:BYTE_0 src1_sel:DWORD
	s_mov_b64 s[6:7], -1
                                        ; implicit-def: $sgpr2_sgpr3
	s_and_saveexec_b64 s[0:1], s[8:9]
; %bb.22:
	s_mov_b32 s3, 0x7ff00000
	s_mov_b32 s2, 1
	s_xor_b64 s[6:7], exec, -1
; %bb.23:
	s_or_b64 exec, exec, s[0:1]
	s_and_b64 s[0:1], s[6:7], exec
	s_or_saveexec_b64 s[4:5], s[4:5]
	v_mov_b64_e32 v[2:3], s[2:3]
	s_xor_b64 exec, exec, s[4:5]
	s_cbranch_execz .LBB3_17
.LBB3_24:
	s_mov_b32 s2, 0xffff
	v_and_b32_sdwa v2, s2, v4 dst_sel:DWORD dst_unused:UNUSED_PAD src0_sel:DWORD src1_sel:BYTE_0
	s_mov_b32 s2, 0
	v_mov_b32_e32 v5, 0
	v_mov_b32_e32 v3, s2
	v_cmp_ne_u16_sdwa s[2:3], v4, v5 src0_sel:BYTE_0 src1_sel:DWORD
	s_andn2_b64 s[0:1], s[0:1], exec
	s_and_b64 s[2:3], s[2:3], exec
	s_or_b64 s[0:1], s[0:1], s[2:3]
	s_or_b64 exec, exec, s[4:5]
	s_and_saveexec_b64 s[2:3], s[0:1]
	s_cbranch_execnz .LBB3_18
	s_branch .LBB3_19
	.section	.rodata,"a",@progbits
	.p2align	6, 0x0
	.amdhsa_kernel _Z24cvt_float_fp8_float_fnuzIdLb0EEvPT_m
		.amdhsa_group_segment_fixed_size 0
		.amdhsa_private_segment_fixed_size 0
		.amdhsa_kernarg_size 16
		.amdhsa_user_sgpr_count 2
		.amdhsa_user_sgpr_dispatch_ptr 0
		.amdhsa_user_sgpr_queue_ptr 0
		.amdhsa_user_sgpr_kernarg_segment_ptr 1
		.amdhsa_user_sgpr_dispatch_id 0
		.amdhsa_user_sgpr_kernarg_preload_length 0
		.amdhsa_user_sgpr_kernarg_preload_offset 0
		.amdhsa_user_sgpr_private_segment_size 0
		.amdhsa_uses_dynamic_stack 0
		.amdhsa_enable_private_segment 0
		.amdhsa_system_sgpr_workgroup_id_x 1
		.amdhsa_system_sgpr_workgroup_id_y 0
		.amdhsa_system_sgpr_workgroup_id_z 0
		.amdhsa_system_sgpr_workgroup_info 0
		.amdhsa_system_vgpr_workitem_id 0
		.amdhsa_next_free_vgpr 12
		.amdhsa_next_free_sgpr 10
		.amdhsa_accum_offset 12
		.amdhsa_reserve_vcc 1
		.amdhsa_float_round_mode_32 0
		.amdhsa_float_round_mode_16_64 0
		.amdhsa_float_denorm_mode_32 3
		.amdhsa_float_denorm_mode_16_64 3
		.amdhsa_dx10_clamp 1
		.amdhsa_ieee_mode 1
		.amdhsa_fp16_overflow 0
		.amdhsa_tg_split 0
		.amdhsa_exception_fp_ieee_invalid_op 0
		.amdhsa_exception_fp_denorm_src 0
		.amdhsa_exception_fp_ieee_div_zero 0
		.amdhsa_exception_fp_ieee_overflow 0
		.amdhsa_exception_fp_ieee_underflow 0
		.amdhsa_exception_fp_ieee_inexact 0
		.amdhsa_exception_int_div_zero 0
	.end_amdhsa_kernel
	.section	.text._Z24cvt_float_fp8_float_fnuzIdLb0EEvPT_m,"axG",@progbits,_Z24cvt_float_fp8_float_fnuzIdLb0EEvPT_m,comdat
.Lfunc_end3:
	.size	_Z24cvt_float_fp8_float_fnuzIdLb0EEvPT_m, .Lfunc_end3-_Z24cvt_float_fp8_float_fnuzIdLb0EEvPT_m
                                        ; -- End function
	.section	.AMDGPU.csdata,"",@progbits
; Kernel info:
; codeLenInByte = 824
; NumSgprs: 16
; NumVgprs: 12
; NumAgprs: 0
; TotalNumVgprs: 12
; ScratchSize: 0
; MemoryBound: 0
; FloatMode: 240
; IeeeMode: 1
; LDSByteSize: 0 bytes/workgroup (compile time only)
; SGPRBlocks: 1
; VGPRBlocks: 1
; NumSGPRsForWavesPerEU: 16
; NumVGPRsForWavesPerEU: 12
; AccumOffset: 12
; Occupancy: 8
; WaveLimiterHint : 0
; COMPUTE_PGM_RSRC2:SCRATCH_EN: 0
; COMPUTE_PGM_RSRC2:USER_SGPR: 2
; COMPUTE_PGM_RSRC2:TRAP_HANDLER: 0
; COMPUTE_PGM_RSRC2:TGID_X_EN: 1
; COMPUTE_PGM_RSRC2:TGID_Y_EN: 0
; COMPUTE_PGM_RSRC2:TGID_Z_EN: 0
; COMPUTE_PGM_RSRC2:TIDIG_COMP_CNT: 0
; COMPUTE_PGM_RSRC3_GFX90A:ACCUM_OFFSET: 2
; COMPUTE_PGM_RSRC3_GFX90A:TG_SPLIT: 0
	.section	.text._Z28cvt_float2_fp8x2_float2_fnuzILb1EEvP15HIP_vector_typeIfLj2EEm,"axG",@progbits,_Z28cvt_float2_fp8x2_float2_fnuzILb1EEvP15HIP_vector_typeIfLj2EEm,comdat
	.protected	_Z28cvt_float2_fp8x2_float2_fnuzILb1EEvP15HIP_vector_typeIfLj2EEm ; -- Begin function _Z28cvt_float2_fp8x2_float2_fnuzILb1EEvP15HIP_vector_typeIfLj2EEm
	.globl	_Z28cvt_float2_fp8x2_float2_fnuzILb1EEvP15HIP_vector_typeIfLj2EEm
	.p2align	8
	.type	_Z28cvt_float2_fp8x2_float2_fnuzILb1EEvP15HIP_vector_typeIfLj2EEm,@function
_Z28cvt_float2_fp8x2_float2_fnuzILb1EEvP15HIP_vector_typeIfLj2EEm: ; @_Z28cvt_float2_fp8x2_float2_fnuzILb1EEvP15HIP_vector_typeIfLj2EEm
; %bb.0:
	s_load_dwordx4 s[0:3], s[0:1], 0x0
	v_mov_b32_e32 v1, 0
	s_waitcnt lgkmcnt(0)
	v_cmp_gt_u64_e32 vcc, s[2:3], v[0:1]
	s_and_saveexec_b64 s[2:3], vcc
	s_cbranch_execz .LBB4_2
; %bb.1:
	v_lshlrev_b32_e32 v4, 3, v0
	global_load_dwordx2 v[2:3], v4, s[0:1]
	s_waitcnt vmcnt(0)
	v_cvt_pk_fp8_f32 v1, v2, v3
	v_and_b32_e32 v0, 0xffff, v1
	v_cvt_pk_f32_fp8_e32 v[0:1], v0
	global_store_dwordx2 v4, v[0:1], s[0:1]
.LBB4_2:
	s_endpgm
	.section	.rodata,"a",@progbits
	.p2align	6, 0x0
	.amdhsa_kernel _Z28cvt_float2_fp8x2_float2_fnuzILb1EEvP15HIP_vector_typeIfLj2EEm
		.amdhsa_group_segment_fixed_size 0
		.amdhsa_private_segment_fixed_size 0
		.amdhsa_kernarg_size 16
		.amdhsa_user_sgpr_count 2
		.amdhsa_user_sgpr_dispatch_ptr 0
		.amdhsa_user_sgpr_queue_ptr 0
		.amdhsa_user_sgpr_kernarg_segment_ptr 1
		.amdhsa_user_sgpr_dispatch_id 0
		.amdhsa_user_sgpr_kernarg_preload_length 0
		.amdhsa_user_sgpr_kernarg_preload_offset 0
		.amdhsa_user_sgpr_private_segment_size 0
		.amdhsa_uses_dynamic_stack 0
		.amdhsa_enable_private_segment 0
		.amdhsa_system_sgpr_workgroup_id_x 1
		.amdhsa_system_sgpr_workgroup_id_y 0
		.amdhsa_system_sgpr_workgroup_id_z 0
		.amdhsa_system_sgpr_workgroup_info 0
		.amdhsa_system_vgpr_workitem_id 0
		.amdhsa_next_free_vgpr 5
		.amdhsa_next_free_sgpr 4
		.amdhsa_accum_offset 8
		.amdhsa_reserve_vcc 1
		.amdhsa_float_round_mode_32 0
		.amdhsa_float_round_mode_16_64 0
		.amdhsa_float_denorm_mode_32 3
		.amdhsa_float_denorm_mode_16_64 3
		.amdhsa_dx10_clamp 1
		.amdhsa_ieee_mode 1
		.amdhsa_fp16_overflow 0
		.amdhsa_tg_split 0
		.amdhsa_exception_fp_ieee_invalid_op 0
		.amdhsa_exception_fp_denorm_src 0
		.amdhsa_exception_fp_ieee_div_zero 0
		.amdhsa_exception_fp_ieee_overflow 0
		.amdhsa_exception_fp_ieee_underflow 0
		.amdhsa_exception_fp_ieee_inexact 0
		.amdhsa_exception_int_div_zero 0
	.end_amdhsa_kernel
	.section	.text._Z28cvt_float2_fp8x2_float2_fnuzILb1EEvP15HIP_vector_typeIfLj2EEm,"axG",@progbits,_Z28cvt_float2_fp8x2_float2_fnuzILb1EEvP15HIP_vector_typeIfLj2EEm,comdat
.Lfunc_end4:
	.size	_Z28cvt_float2_fp8x2_float2_fnuzILb1EEvP15HIP_vector_typeIfLj2EEm, .Lfunc_end4-_Z28cvt_float2_fp8x2_float2_fnuzILb1EEvP15HIP_vector_typeIfLj2EEm
                                        ; -- End function
	.section	.AMDGPU.csdata,"",@progbits
; Kernel info:
; codeLenInByte = 76
; NumSgprs: 10
; NumVgprs: 5
; NumAgprs: 0
; TotalNumVgprs: 5
; ScratchSize: 0
; MemoryBound: 0
; FloatMode: 240
; IeeeMode: 1
; LDSByteSize: 0 bytes/workgroup (compile time only)
; SGPRBlocks: 1
; VGPRBlocks: 0
; NumSGPRsForWavesPerEU: 10
; NumVGPRsForWavesPerEU: 5
; AccumOffset: 8
; Occupancy: 8
; WaveLimiterHint : 0
; COMPUTE_PGM_RSRC2:SCRATCH_EN: 0
; COMPUTE_PGM_RSRC2:USER_SGPR: 2
; COMPUTE_PGM_RSRC2:TRAP_HANDLER: 0
; COMPUTE_PGM_RSRC2:TGID_X_EN: 1
; COMPUTE_PGM_RSRC2:TGID_Y_EN: 0
; COMPUTE_PGM_RSRC2:TGID_Z_EN: 0
; COMPUTE_PGM_RSRC2:TIDIG_COMP_CNT: 0
; COMPUTE_PGM_RSRC3_GFX90A:ACCUM_OFFSET: 1
; COMPUTE_PGM_RSRC3_GFX90A:TG_SPLIT: 0
	.section	.text._Z28cvt_float2_fp8x2_float2_fnuzILb0EEvP15HIP_vector_typeIfLj2EEm,"axG",@progbits,_Z28cvt_float2_fp8x2_float2_fnuzILb0EEvP15HIP_vector_typeIfLj2EEm,comdat
	.protected	_Z28cvt_float2_fp8x2_float2_fnuzILb0EEvP15HIP_vector_typeIfLj2EEm ; -- Begin function _Z28cvt_float2_fp8x2_float2_fnuzILb0EEvP15HIP_vector_typeIfLj2EEm
	.globl	_Z28cvt_float2_fp8x2_float2_fnuzILb0EEvP15HIP_vector_typeIfLj2EEm
	.p2align	8
	.type	_Z28cvt_float2_fp8x2_float2_fnuzILb0EEvP15HIP_vector_typeIfLj2EEm,@function
_Z28cvt_float2_fp8x2_float2_fnuzILb0EEvP15HIP_vector_typeIfLj2EEm: ; @_Z28cvt_float2_fp8x2_float2_fnuzILb0EEvP15HIP_vector_typeIfLj2EEm
; %bb.0:
	s_load_dwordx4 s[0:3], s[0:1], 0x0
	v_mov_b32_e32 v1, 0
	s_waitcnt lgkmcnt(0)
	v_cmp_gt_u64_e32 vcc, s[2:3], v[0:1]
	s_and_saveexec_b64 s[2:3], vcc
	s_cbranch_execz .LBB5_2
; %bb.1:
	v_lshlrev_b32_e32 v4, 3, v0
	global_load_dwordx2 v[2:3], v4, s[0:1]
	s_waitcnt vmcnt(0)
	v_cvt_pk_bf8_f32 v1, v2, v3
	v_and_b32_e32 v0, 0xffff, v1
	v_cvt_pk_f32_bf8_e32 v[0:1], v0
	global_store_dwordx2 v4, v[0:1], s[0:1]
.LBB5_2:
	s_endpgm
	.section	.rodata,"a",@progbits
	.p2align	6, 0x0
	.amdhsa_kernel _Z28cvt_float2_fp8x2_float2_fnuzILb0EEvP15HIP_vector_typeIfLj2EEm
		.amdhsa_group_segment_fixed_size 0
		.amdhsa_private_segment_fixed_size 0
		.amdhsa_kernarg_size 16
		.amdhsa_user_sgpr_count 2
		.amdhsa_user_sgpr_dispatch_ptr 0
		.amdhsa_user_sgpr_queue_ptr 0
		.amdhsa_user_sgpr_kernarg_segment_ptr 1
		.amdhsa_user_sgpr_dispatch_id 0
		.amdhsa_user_sgpr_kernarg_preload_length 0
		.amdhsa_user_sgpr_kernarg_preload_offset 0
		.amdhsa_user_sgpr_private_segment_size 0
		.amdhsa_uses_dynamic_stack 0
		.amdhsa_enable_private_segment 0
		.amdhsa_system_sgpr_workgroup_id_x 1
		.amdhsa_system_sgpr_workgroup_id_y 0
		.amdhsa_system_sgpr_workgroup_id_z 0
		.amdhsa_system_sgpr_workgroup_info 0
		.amdhsa_system_vgpr_workitem_id 0
		.amdhsa_next_free_vgpr 5
		.amdhsa_next_free_sgpr 4
		.amdhsa_accum_offset 8
		.amdhsa_reserve_vcc 1
		.amdhsa_float_round_mode_32 0
		.amdhsa_float_round_mode_16_64 0
		.amdhsa_float_denorm_mode_32 3
		.amdhsa_float_denorm_mode_16_64 3
		.amdhsa_dx10_clamp 1
		.amdhsa_ieee_mode 1
		.amdhsa_fp16_overflow 0
		.amdhsa_tg_split 0
		.amdhsa_exception_fp_ieee_invalid_op 0
		.amdhsa_exception_fp_denorm_src 0
		.amdhsa_exception_fp_ieee_div_zero 0
		.amdhsa_exception_fp_ieee_overflow 0
		.amdhsa_exception_fp_ieee_underflow 0
		.amdhsa_exception_fp_ieee_inexact 0
		.amdhsa_exception_int_div_zero 0
	.end_amdhsa_kernel
	.section	.text._Z28cvt_float2_fp8x2_float2_fnuzILb0EEvP15HIP_vector_typeIfLj2EEm,"axG",@progbits,_Z28cvt_float2_fp8x2_float2_fnuzILb0EEvP15HIP_vector_typeIfLj2EEm,comdat
.Lfunc_end5:
	.size	_Z28cvt_float2_fp8x2_float2_fnuzILb0EEvP15HIP_vector_typeIfLj2EEm, .Lfunc_end5-_Z28cvt_float2_fp8x2_float2_fnuzILb0EEvP15HIP_vector_typeIfLj2EEm
                                        ; -- End function
	.section	.AMDGPU.csdata,"",@progbits
; Kernel info:
; codeLenInByte = 76
; NumSgprs: 10
; NumVgprs: 5
; NumAgprs: 0
; TotalNumVgprs: 5
; ScratchSize: 0
; MemoryBound: 0
; FloatMode: 240
; IeeeMode: 1
; LDSByteSize: 0 bytes/workgroup (compile time only)
; SGPRBlocks: 1
; VGPRBlocks: 0
; NumSGPRsForWavesPerEU: 10
; NumVGPRsForWavesPerEU: 5
; AccumOffset: 8
; Occupancy: 8
; WaveLimiterHint : 0
; COMPUTE_PGM_RSRC2:SCRATCH_EN: 0
; COMPUTE_PGM_RSRC2:USER_SGPR: 2
; COMPUTE_PGM_RSRC2:TRAP_HANDLER: 0
; COMPUTE_PGM_RSRC2:TGID_X_EN: 1
; COMPUTE_PGM_RSRC2:TGID_Y_EN: 0
; COMPUTE_PGM_RSRC2:TGID_Z_EN: 0
; COMPUTE_PGM_RSRC2:TIDIG_COMP_CNT: 0
; COMPUTE_PGM_RSRC3_GFX90A:ACCUM_OFFSET: 1
; COMPUTE_PGM_RSRC3_GFX90A:TG_SPLIT: 0
	.section	.text._Z28cvt_float4_fp8x4_float4_fnuzILb1EEvP15HIP_vector_typeIfLj4EEm,"axG",@progbits,_Z28cvt_float4_fp8x4_float4_fnuzILb1EEvP15HIP_vector_typeIfLj4EEm,comdat
	.protected	_Z28cvt_float4_fp8x4_float4_fnuzILb1EEvP15HIP_vector_typeIfLj4EEm ; -- Begin function _Z28cvt_float4_fp8x4_float4_fnuzILb1EEvP15HIP_vector_typeIfLj4EEm
	.globl	_Z28cvt_float4_fp8x4_float4_fnuzILb1EEvP15HIP_vector_typeIfLj4EEm
	.p2align	8
	.type	_Z28cvt_float4_fp8x4_float4_fnuzILb1EEvP15HIP_vector_typeIfLj4EEm,@function
_Z28cvt_float4_fp8x4_float4_fnuzILb1EEvP15HIP_vector_typeIfLj4EEm: ; @_Z28cvt_float4_fp8x4_float4_fnuzILb1EEvP15HIP_vector_typeIfLj4EEm
; %bb.0:
	s_load_dwordx4 s[0:3], s[0:1], 0x0
	v_mov_b32_e32 v1, 0
	s_waitcnt lgkmcnt(0)
	v_cmp_gt_u64_e32 vcc, s[2:3], v[0:1]
	s_and_saveexec_b64 s[2:3], vcc
	s_cbranch_execz .LBB6_2
; %bb.1:
	v_lshlrev_b32_e32 v6, 4, v0
	global_load_dwordx4 v[2:5], v6, s[0:1]
	s_mov_b32 s2, 0x7f800000
	s_mov_b32 s3, 0x43700000
	v_mov_b32_e32 v0, 0xc3700000
	v_mov_b32_e32 v9, v1
	;; [unrolled: 1-line block ×4, first 2 shown]
	s_mov_b32 s5, 0x4020c0c
	s_mov_b32 s4, 0xc0c0500
	s_waitcnt vmcnt(0)
	v_med3_f32 v10, v2, s3, v0
	v_cmp_nlg_f32_e64 vcc, |v2|, s2
	v_med3_f32 v11, v3, s3, v0
	v_med3_f32 v12, v4, s3, v0
	v_cndmask_b32_e32 v2, v10, v2, vcc
	v_cmp_nlg_f32_e64 vcc, |v3|, s2
	v_med3_f32 v0, v5, s3, v0
	v_cvt_pk_fp8_f32 v7, v2, v2
	v_cndmask_b32_e32 v3, v11, v3, vcc
	v_cmp_nlg_f32_e64 vcc, |v4|, s2
	v_cvt_pk_fp8_f32 v8, v3, v3
	s_nop 0
	v_cndmask_b32_e32 v4, v12, v4, vcc
	v_cmp_nlg_f32_e64 vcc, |v5|, s2
	v_cvt_pk_fp8_f32 v9, v4, v4
	v_lshlrev_b32_e32 v2, 16, v9
	v_cndmask_b32_e32 v0, v0, v5, vcc
	v_cvt_pk_fp8_f32 v1, v0, v0
	v_lshlrev_b32_e32 v0, 8, v8
	v_perm_b32 v0, v0, v7, s4
	v_perm_b32 v1, v1, v2, s5
	v_lshrrev_b32_e32 v1, 16, v1
	v_cvt_pk_f32_fp8_e32 v[2:3], v1
	v_cvt_pk_f32_fp8_e32 v[0:1], v0
	global_store_dwordx4 v6, v[0:3], s[0:1]
.LBB6_2:
	s_endpgm
	.section	.rodata,"a",@progbits
	.p2align	6, 0x0
	.amdhsa_kernel _Z28cvt_float4_fp8x4_float4_fnuzILb1EEvP15HIP_vector_typeIfLj4EEm
		.amdhsa_group_segment_fixed_size 0
		.amdhsa_private_segment_fixed_size 0
		.amdhsa_kernarg_size 16
		.amdhsa_user_sgpr_count 2
		.amdhsa_user_sgpr_dispatch_ptr 0
		.amdhsa_user_sgpr_queue_ptr 0
		.amdhsa_user_sgpr_kernarg_segment_ptr 1
		.amdhsa_user_sgpr_dispatch_id 0
		.amdhsa_user_sgpr_kernarg_preload_length 0
		.amdhsa_user_sgpr_kernarg_preload_offset 0
		.amdhsa_user_sgpr_private_segment_size 0
		.amdhsa_uses_dynamic_stack 0
		.amdhsa_enable_private_segment 0
		.amdhsa_system_sgpr_workgroup_id_x 1
		.amdhsa_system_sgpr_workgroup_id_y 0
		.amdhsa_system_sgpr_workgroup_id_z 0
		.amdhsa_system_sgpr_workgroup_info 0
		.amdhsa_system_vgpr_workitem_id 0
		.amdhsa_next_free_vgpr 13
		.amdhsa_next_free_sgpr 6
		.amdhsa_accum_offset 16
		.amdhsa_reserve_vcc 1
		.amdhsa_float_round_mode_32 0
		.amdhsa_float_round_mode_16_64 0
		.amdhsa_float_denorm_mode_32 3
		.amdhsa_float_denorm_mode_16_64 3
		.amdhsa_dx10_clamp 1
		.amdhsa_ieee_mode 1
		.amdhsa_fp16_overflow 0
		.amdhsa_tg_split 0
		.amdhsa_exception_fp_ieee_invalid_op 0
		.amdhsa_exception_fp_denorm_src 0
		.amdhsa_exception_fp_ieee_div_zero 0
		.amdhsa_exception_fp_ieee_overflow 0
		.amdhsa_exception_fp_ieee_underflow 0
		.amdhsa_exception_fp_ieee_inexact 0
		.amdhsa_exception_int_div_zero 0
	.end_amdhsa_kernel
	.section	.text._Z28cvt_float4_fp8x4_float4_fnuzILb1EEvP15HIP_vector_typeIfLj4EEm,"axG",@progbits,_Z28cvt_float4_fp8x4_float4_fnuzILb1EEvP15HIP_vector_typeIfLj4EEm,comdat
.Lfunc_end6:
	.size	_Z28cvt_float4_fp8x4_float4_fnuzILb1EEvP15HIP_vector_typeIfLj4EEm, .Lfunc_end6-_Z28cvt_float4_fp8x4_float4_fnuzILb1EEvP15HIP_vector_typeIfLj4EEm
                                        ; -- End function
	.section	.AMDGPU.csdata,"",@progbits
; Kernel info:
; codeLenInByte = 260
; NumSgprs: 12
; NumVgprs: 13
; NumAgprs: 0
; TotalNumVgprs: 13
; ScratchSize: 0
; MemoryBound: 0
; FloatMode: 240
; IeeeMode: 1
; LDSByteSize: 0 bytes/workgroup (compile time only)
; SGPRBlocks: 1
; VGPRBlocks: 1
; NumSGPRsForWavesPerEU: 12
; NumVGPRsForWavesPerEU: 13
; AccumOffset: 16
; Occupancy: 8
; WaveLimiterHint : 0
; COMPUTE_PGM_RSRC2:SCRATCH_EN: 0
; COMPUTE_PGM_RSRC2:USER_SGPR: 2
; COMPUTE_PGM_RSRC2:TRAP_HANDLER: 0
; COMPUTE_PGM_RSRC2:TGID_X_EN: 1
; COMPUTE_PGM_RSRC2:TGID_Y_EN: 0
; COMPUTE_PGM_RSRC2:TGID_Z_EN: 0
; COMPUTE_PGM_RSRC2:TIDIG_COMP_CNT: 0
; COMPUTE_PGM_RSRC3_GFX90A:ACCUM_OFFSET: 3
; COMPUTE_PGM_RSRC3_GFX90A:TG_SPLIT: 0
	.section	.text._Z28cvt_float4_fp8x4_float4_fnuzILb0EEvP15HIP_vector_typeIfLj4EEm,"axG",@progbits,_Z28cvt_float4_fp8x4_float4_fnuzILb0EEvP15HIP_vector_typeIfLj4EEm,comdat
	.protected	_Z28cvt_float4_fp8x4_float4_fnuzILb0EEvP15HIP_vector_typeIfLj4EEm ; -- Begin function _Z28cvt_float4_fp8x4_float4_fnuzILb0EEvP15HIP_vector_typeIfLj4EEm
	.globl	_Z28cvt_float4_fp8x4_float4_fnuzILb0EEvP15HIP_vector_typeIfLj4EEm
	.p2align	8
	.type	_Z28cvt_float4_fp8x4_float4_fnuzILb0EEvP15HIP_vector_typeIfLj4EEm,@function
_Z28cvt_float4_fp8x4_float4_fnuzILb0EEvP15HIP_vector_typeIfLj4EEm: ; @_Z28cvt_float4_fp8x4_float4_fnuzILb0EEvP15HIP_vector_typeIfLj4EEm
; %bb.0:
	s_load_dwordx4 s[0:3], s[0:1], 0x0
	v_mov_b32_e32 v1, 0
	s_waitcnt lgkmcnt(0)
	v_cmp_gt_u64_e32 vcc, s[2:3], v[0:1]
	s_and_saveexec_b64 s[2:3], vcc
	s_cbranch_execz .LBB7_2
; %bb.1:
	v_lshlrev_b32_e32 v6, 4, v0
	global_load_dwordx4 v[2:5], v6, s[0:1]
	s_mov_b32 s2, 0x7f800000
	s_mov_b32 s3, 0x47600000
	v_mov_b32_e32 v0, 0xc7600000
	v_mov_b32_e32 v9, v1
	;; [unrolled: 1-line block ×4, first 2 shown]
	s_mov_b32 s5, 0x4020c0c
	s_mov_b32 s4, 0xc0c0500
	s_waitcnt vmcnt(0)
	v_med3_f32 v10, v2, s3, v0
	v_cmp_nlg_f32_e64 vcc, |v2|, s2
	v_med3_f32 v11, v3, s3, v0
	v_med3_f32 v12, v4, s3, v0
	v_cndmask_b32_e32 v2, v10, v2, vcc
	v_cmp_nlg_f32_e64 vcc, |v3|, s2
	v_med3_f32 v0, v5, s3, v0
	v_cvt_pk_bf8_f32 v7, v2, v2
	v_cndmask_b32_e32 v3, v11, v3, vcc
	v_cmp_nlg_f32_e64 vcc, |v4|, s2
	v_cvt_pk_bf8_f32 v8, v3, v3
	s_nop 0
	v_cndmask_b32_e32 v4, v12, v4, vcc
	v_cmp_nlg_f32_e64 vcc, |v5|, s2
	v_cvt_pk_bf8_f32 v9, v4, v4
	v_lshlrev_b32_e32 v2, 16, v9
	v_cndmask_b32_e32 v0, v0, v5, vcc
	v_cvt_pk_bf8_f32 v1, v0, v0
	v_lshlrev_b32_e32 v0, 8, v8
	v_perm_b32 v0, v0, v7, s4
	v_perm_b32 v1, v1, v2, s5
	v_lshrrev_b32_e32 v1, 16, v1
	v_cvt_pk_f32_bf8_e32 v[2:3], v1
	v_cvt_pk_f32_bf8_e32 v[0:1], v0
	global_store_dwordx4 v6, v[0:3], s[0:1]
.LBB7_2:
	s_endpgm
	.section	.rodata,"a",@progbits
	.p2align	6, 0x0
	.amdhsa_kernel _Z28cvt_float4_fp8x4_float4_fnuzILb0EEvP15HIP_vector_typeIfLj4EEm
		.amdhsa_group_segment_fixed_size 0
		.amdhsa_private_segment_fixed_size 0
		.amdhsa_kernarg_size 16
		.amdhsa_user_sgpr_count 2
		.amdhsa_user_sgpr_dispatch_ptr 0
		.amdhsa_user_sgpr_queue_ptr 0
		.amdhsa_user_sgpr_kernarg_segment_ptr 1
		.amdhsa_user_sgpr_dispatch_id 0
		.amdhsa_user_sgpr_kernarg_preload_length 0
		.amdhsa_user_sgpr_kernarg_preload_offset 0
		.amdhsa_user_sgpr_private_segment_size 0
		.amdhsa_uses_dynamic_stack 0
		.amdhsa_enable_private_segment 0
		.amdhsa_system_sgpr_workgroup_id_x 1
		.amdhsa_system_sgpr_workgroup_id_y 0
		.amdhsa_system_sgpr_workgroup_id_z 0
		.amdhsa_system_sgpr_workgroup_info 0
		.amdhsa_system_vgpr_workitem_id 0
		.amdhsa_next_free_vgpr 13
		.amdhsa_next_free_sgpr 6
		.amdhsa_accum_offset 16
		.amdhsa_reserve_vcc 1
		.amdhsa_float_round_mode_32 0
		.amdhsa_float_round_mode_16_64 0
		.amdhsa_float_denorm_mode_32 3
		.amdhsa_float_denorm_mode_16_64 3
		.amdhsa_dx10_clamp 1
		.amdhsa_ieee_mode 1
		.amdhsa_fp16_overflow 0
		.amdhsa_tg_split 0
		.amdhsa_exception_fp_ieee_invalid_op 0
		.amdhsa_exception_fp_denorm_src 0
		.amdhsa_exception_fp_ieee_div_zero 0
		.amdhsa_exception_fp_ieee_overflow 0
		.amdhsa_exception_fp_ieee_underflow 0
		.amdhsa_exception_fp_ieee_inexact 0
		.amdhsa_exception_int_div_zero 0
	.end_amdhsa_kernel
	.section	.text._Z28cvt_float4_fp8x4_float4_fnuzILb0EEvP15HIP_vector_typeIfLj4EEm,"axG",@progbits,_Z28cvt_float4_fp8x4_float4_fnuzILb0EEvP15HIP_vector_typeIfLj4EEm,comdat
.Lfunc_end7:
	.size	_Z28cvt_float4_fp8x4_float4_fnuzILb0EEvP15HIP_vector_typeIfLj4EEm, .Lfunc_end7-_Z28cvt_float4_fp8x4_float4_fnuzILb0EEvP15HIP_vector_typeIfLj4EEm
                                        ; -- End function
	.section	.AMDGPU.csdata,"",@progbits
; Kernel info:
; codeLenInByte = 260
; NumSgprs: 12
; NumVgprs: 13
; NumAgprs: 0
; TotalNumVgprs: 13
; ScratchSize: 0
; MemoryBound: 0
; FloatMode: 240
; IeeeMode: 1
; LDSByteSize: 0 bytes/workgroup (compile time only)
; SGPRBlocks: 1
; VGPRBlocks: 1
; NumSGPRsForWavesPerEU: 12
; NumVGPRsForWavesPerEU: 13
; AccumOffset: 16
; Occupancy: 8
; WaveLimiterHint : 0
; COMPUTE_PGM_RSRC2:SCRATCH_EN: 0
; COMPUTE_PGM_RSRC2:USER_SGPR: 2
; COMPUTE_PGM_RSRC2:TRAP_HANDLER: 0
; COMPUTE_PGM_RSRC2:TGID_X_EN: 1
; COMPUTE_PGM_RSRC2:TGID_Y_EN: 0
; COMPUTE_PGM_RSRC2:TGID_Z_EN: 0
; COMPUTE_PGM_RSRC2:TIDIG_COMP_CNT: 0
; COMPUTE_PGM_RSRC3_GFX90A:ACCUM_OFFSET: 3
; COMPUTE_PGM_RSRC3_GFX90A:TG_SPLIT: 0
	.section	.text._Z15fp8_2_bool_fnuzILb1EEvPfPbm,"axG",@progbits,_Z15fp8_2_bool_fnuzILb1EEvPfPbm,comdat
	.protected	_Z15fp8_2_bool_fnuzILb1EEvPfPbm ; -- Begin function _Z15fp8_2_bool_fnuzILb1EEvPfPbm
	.globl	_Z15fp8_2_bool_fnuzILb1EEvPfPbm
	.p2align	8
	.type	_Z15fp8_2_bool_fnuzILb1EEvPfPbm,@function
_Z15fp8_2_bool_fnuzILb1EEvPfPbm:        ; @_Z15fp8_2_bool_fnuzILb1EEvPfPbm
; %bb.0:
	s_load_dwordx2 s[2:3], s[0:1], 0x10
	v_mov_b32_e32 v1, 0
	s_waitcnt lgkmcnt(0)
	v_cmp_gt_u64_e32 vcc, s[2:3], v[0:1]
	s_and_saveexec_b64 s[2:3], vcc
	s_cbranch_execz .LBB8_2
; %bb.1:
	s_load_dwordx4 s[0:3], s[0:1], 0x0
	v_lshlrev_b32_e32 v2, 2, v0
	v_mov_b32_e32 v3, 0xc3700000
	v_mov_b32_e32 v4, v1
	s_waitcnt lgkmcnt(0)
	global_load_dword v2, v2, s[0:1]
	s_mov_b32 s0, 0x7f800000
	s_mov_b32 s1, 0x43700000
	s_waitcnt vmcnt(0)
	v_med3_f32 v3, v2, s1, v3
	v_cmp_nlg_f32_e64 vcc, |v2|, s0
	s_nop 1
	v_cndmask_b32_e32 v2, v3, v2, vcc
	v_cvt_pk_fp8_f32 v4, v2, v2
	v_cmp_ne_u32_sdwa s[0:1], v4, v1 src0_sel:BYTE_0 src1_sel:DWORD
	s_nop 1
	v_cndmask_b32_e64 v2, 0, 1, s[0:1]
	v_lshl_add_u64 v[0:1], s[2:3], 0, v[0:1]
	global_store_byte v[0:1], v2, off
.LBB8_2:
	s_endpgm
	.section	.rodata,"a",@progbits
	.p2align	6, 0x0
	.amdhsa_kernel _Z15fp8_2_bool_fnuzILb1EEvPfPbm
		.amdhsa_group_segment_fixed_size 0
		.amdhsa_private_segment_fixed_size 0
		.amdhsa_kernarg_size 24
		.amdhsa_user_sgpr_count 2
		.amdhsa_user_sgpr_dispatch_ptr 0
		.amdhsa_user_sgpr_queue_ptr 0
		.amdhsa_user_sgpr_kernarg_segment_ptr 1
		.amdhsa_user_sgpr_dispatch_id 0
		.amdhsa_user_sgpr_kernarg_preload_length 0
		.amdhsa_user_sgpr_kernarg_preload_offset 0
		.amdhsa_user_sgpr_private_segment_size 0
		.amdhsa_uses_dynamic_stack 0
		.amdhsa_enable_private_segment 0
		.amdhsa_system_sgpr_workgroup_id_x 1
		.amdhsa_system_sgpr_workgroup_id_y 0
		.amdhsa_system_sgpr_workgroup_id_z 0
		.amdhsa_system_sgpr_workgroup_info 0
		.amdhsa_system_vgpr_workitem_id 0
		.amdhsa_next_free_vgpr 5
		.amdhsa_next_free_sgpr 4
		.amdhsa_accum_offset 8
		.amdhsa_reserve_vcc 1
		.amdhsa_float_round_mode_32 0
		.amdhsa_float_round_mode_16_64 0
		.amdhsa_float_denorm_mode_32 3
		.amdhsa_float_denorm_mode_16_64 3
		.amdhsa_dx10_clamp 1
		.amdhsa_ieee_mode 1
		.amdhsa_fp16_overflow 0
		.amdhsa_tg_split 0
		.amdhsa_exception_fp_ieee_invalid_op 0
		.amdhsa_exception_fp_denorm_src 0
		.amdhsa_exception_fp_ieee_div_zero 0
		.amdhsa_exception_fp_ieee_overflow 0
		.amdhsa_exception_fp_ieee_underflow 0
		.amdhsa_exception_fp_ieee_inexact 0
		.amdhsa_exception_int_div_zero 0
	.end_amdhsa_kernel
	.section	.text._Z15fp8_2_bool_fnuzILb1EEvPfPbm,"axG",@progbits,_Z15fp8_2_bool_fnuzILb1EEvPfPbm,comdat
.Lfunc_end8:
	.size	_Z15fp8_2_bool_fnuzILb1EEvPfPbm, .Lfunc_end8-_Z15fp8_2_bool_fnuzILb1EEvPfPbm
                                        ; -- End function
	.section	.AMDGPU.csdata,"",@progbits
; Kernel info:
; codeLenInByte = 156
; NumSgprs: 10
; NumVgprs: 5
; NumAgprs: 0
; TotalNumVgprs: 5
; ScratchSize: 0
; MemoryBound: 0
; FloatMode: 240
; IeeeMode: 1
; LDSByteSize: 0 bytes/workgroup (compile time only)
; SGPRBlocks: 1
; VGPRBlocks: 0
; NumSGPRsForWavesPerEU: 10
; NumVGPRsForWavesPerEU: 5
; AccumOffset: 8
; Occupancy: 8
; WaveLimiterHint : 0
; COMPUTE_PGM_RSRC2:SCRATCH_EN: 0
; COMPUTE_PGM_RSRC2:USER_SGPR: 2
; COMPUTE_PGM_RSRC2:TRAP_HANDLER: 0
; COMPUTE_PGM_RSRC2:TGID_X_EN: 1
; COMPUTE_PGM_RSRC2:TGID_Y_EN: 0
; COMPUTE_PGM_RSRC2:TGID_Z_EN: 0
; COMPUTE_PGM_RSRC2:TIDIG_COMP_CNT: 0
; COMPUTE_PGM_RSRC3_GFX90A:ACCUM_OFFSET: 1
; COMPUTE_PGM_RSRC3_GFX90A:TG_SPLIT: 0
	.section	.text._Z15fp8_2_bool_fnuzILb0EEvPfPbm,"axG",@progbits,_Z15fp8_2_bool_fnuzILb0EEvPfPbm,comdat
	.protected	_Z15fp8_2_bool_fnuzILb0EEvPfPbm ; -- Begin function _Z15fp8_2_bool_fnuzILb0EEvPfPbm
	.globl	_Z15fp8_2_bool_fnuzILb0EEvPfPbm
	.p2align	8
	.type	_Z15fp8_2_bool_fnuzILb0EEvPfPbm,@function
_Z15fp8_2_bool_fnuzILb0EEvPfPbm:        ; @_Z15fp8_2_bool_fnuzILb0EEvPfPbm
; %bb.0:
	s_load_dwordx2 s[2:3], s[0:1], 0x10
	v_mov_b32_e32 v1, 0
	s_waitcnt lgkmcnt(0)
	v_cmp_gt_u64_e32 vcc, s[2:3], v[0:1]
	s_and_saveexec_b64 s[2:3], vcc
	s_cbranch_execz .LBB9_2
; %bb.1:
	s_load_dwordx4 s[0:3], s[0:1], 0x0
	v_lshlrev_b32_e32 v2, 2, v0
	v_mov_b32_e32 v3, 0xc7600000
	v_mov_b32_e32 v4, v1
	s_waitcnt lgkmcnt(0)
	global_load_dword v2, v2, s[0:1]
	s_mov_b32 s0, 0x7f800000
	s_mov_b32 s1, 0x47600000
	s_waitcnt vmcnt(0)
	v_med3_f32 v3, v2, s1, v3
	v_cmp_nlg_f32_e64 vcc, |v2|, s0
	s_nop 1
	v_cndmask_b32_e32 v2, v3, v2, vcc
	v_cvt_pk_bf8_f32 v4, v2, v2
	v_cmp_ne_u32_sdwa s[0:1], v4, v1 src0_sel:BYTE_0 src1_sel:DWORD
	s_nop 1
	v_cndmask_b32_e64 v2, 0, 1, s[0:1]
	v_lshl_add_u64 v[0:1], s[2:3], 0, v[0:1]
	global_store_byte v[0:1], v2, off
.LBB9_2:
	s_endpgm
	.section	.rodata,"a",@progbits
	.p2align	6, 0x0
	.amdhsa_kernel _Z15fp8_2_bool_fnuzILb0EEvPfPbm
		.amdhsa_group_segment_fixed_size 0
		.amdhsa_private_segment_fixed_size 0
		.amdhsa_kernarg_size 24
		.amdhsa_user_sgpr_count 2
		.amdhsa_user_sgpr_dispatch_ptr 0
		.amdhsa_user_sgpr_queue_ptr 0
		.amdhsa_user_sgpr_kernarg_segment_ptr 1
		.amdhsa_user_sgpr_dispatch_id 0
		.amdhsa_user_sgpr_kernarg_preload_length 0
		.amdhsa_user_sgpr_kernarg_preload_offset 0
		.amdhsa_user_sgpr_private_segment_size 0
		.amdhsa_uses_dynamic_stack 0
		.amdhsa_enable_private_segment 0
		.amdhsa_system_sgpr_workgroup_id_x 1
		.amdhsa_system_sgpr_workgroup_id_y 0
		.amdhsa_system_sgpr_workgroup_id_z 0
		.amdhsa_system_sgpr_workgroup_info 0
		.amdhsa_system_vgpr_workitem_id 0
		.amdhsa_next_free_vgpr 5
		.amdhsa_next_free_sgpr 4
		.amdhsa_accum_offset 8
		.amdhsa_reserve_vcc 1
		.amdhsa_float_round_mode_32 0
		.amdhsa_float_round_mode_16_64 0
		.amdhsa_float_denorm_mode_32 3
		.amdhsa_float_denorm_mode_16_64 3
		.amdhsa_dx10_clamp 1
		.amdhsa_ieee_mode 1
		.amdhsa_fp16_overflow 0
		.amdhsa_tg_split 0
		.amdhsa_exception_fp_ieee_invalid_op 0
		.amdhsa_exception_fp_denorm_src 0
		.amdhsa_exception_fp_ieee_div_zero 0
		.amdhsa_exception_fp_ieee_overflow 0
		.amdhsa_exception_fp_ieee_underflow 0
		.amdhsa_exception_fp_ieee_inexact 0
		.amdhsa_exception_int_div_zero 0
	.end_amdhsa_kernel
	.section	.text._Z15fp8_2_bool_fnuzILb0EEvPfPbm,"axG",@progbits,_Z15fp8_2_bool_fnuzILb0EEvPfPbm,comdat
.Lfunc_end9:
	.size	_Z15fp8_2_bool_fnuzILb0EEvPfPbm, .Lfunc_end9-_Z15fp8_2_bool_fnuzILb0EEvPfPbm
                                        ; -- End function
	.section	.AMDGPU.csdata,"",@progbits
; Kernel info:
; codeLenInByte = 156
; NumSgprs: 10
; NumVgprs: 5
; NumAgprs: 0
; TotalNumVgprs: 5
; ScratchSize: 0
; MemoryBound: 0
; FloatMode: 240
; IeeeMode: 1
; LDSByteSize: 0 bytes/workgroup (compile time only)
; SGPRBlocks: 1
; VGPRBlocks: 0
; NumSGPRsForWavesPerEU: 10
; NumVGPRsForWavesPerEU: 5
; AccumOffset: 8
; Occupancy: 8
; WaveLimiterHint : 0
; COMPUTE_PGM_RSRC2:SCRATCH_EN: 0
; COMPUTE_PGM_RSRC2:USER_SGPR: 2
; COMPUTE_PGM_RSRC2:TRAP_HANDLER: 0
; COMPUTE_PGM_RSRC2:TGID_X_EN: 1
; COMPUTE_PGM_RSRC2:TGID_Y_EN: 0
; COMPUTE_PGM_RSRC2:TGID_Z_EN: 0
; COMPUTE_PGM_RSRC2:TIDIG_COMP_CNT: 0
; COMPUTE_PGM_RSRC3_GFX90A:ACCUM_OFFSET: 1
; COMPUTE_PGM_RSRC3_GFX90A:TG_SPLIT: 0
	.section	.text._Z16Type_to_fp8_fnuzILb1EEvPfPhm,"axG",@progbits,_Z16Type_to_fp8_fnuzILb1EEvPfPhm,comdat
	.protected	_Z16Type_to_fp8_fnuzILb1EEvPfPhm ; -- Begin function _Z16Type_to_fp8_fnuzILb1EEvPfPhm
	.globl	_Z16Type_to_fp8_fnuzILb1EEvPfPhm
	.p2align	8
	.type	_Z16Type_to_fp8_fnuzILb1EEvPfPhm,@function
_Z16Type_to_fp8_fnuzILb1EEvPfPhm:       ; @_Z16Type_to_fp8_fnuzILb1EEvPfPhm
; %bb.0:
	s_load_dword s3, s[0:1], 0x24
	s_load_dwordx2 s[4:5], s[0:1], 0x10
	v_mov_b32_e32 v1, 0
	s_waitcnt lgkmcnt(0)
	s_and_b32 s3, s3, 0xffff
	s_mul_i32 s2, s2, s3
	v_add_u32_e32 v0, s2, v0
	v_cmp_gt_u64_e32 vcc, s[4:5], v[0:1]
	s_and_saveexec_b64 s[2:3], vcc
	s_cbranch_execz .LBB10_2
; %bb.1:
	s_load_dwordx4 s[0:3], s[0:1], 0x0
	s_waitcnt lgkmcnt(0)
	v_mov_b32_e32 v2, s0
	v_mov_b32_e32 v3, s1
	v_lshl_add_u64 v[2:3], v[0:1], 2, v[2:3]
	global_load_dword v2, v[2:3], off
	s_mov_b32 s0, 0x7f800000
	s_mov_b32 s1, 0x43700000
	v_mov_b32_e32 v3, 0xc3700000
	s_waitcnt vmcnt(0)
	v_med3_f32 v3, v2, s1, v3
	v_cmp_nlg_f32_e64 vcc, |v2|, s0
	s_nop 1
	v_cndmask_b32_e32 v2, v3, v2, vcc
	v_mov_b32_e32 v3, v1
	v_cvt_pk_fp8_f32 v3, v2, v2
	v_lshl_add_u64 v[0:1], s[2:3], 0, v[0:1]
	global_store_byte v[0:1], v3, off
.LBB10_2:
	s_endpgm
	.section	.rodata,"a",@progbits
	.p2align	6, 0x0
	.amdhsa_kernel _Z16Type_to_fp8_fnuzILb1EEvPfPhm
		.amdhsa_group_segment_fixed_size 0
		.amdhsa_private_segment_fixed_size 0
		.amdhsa_kernarg_size 280
		.amdhsa_user_sgpr_count 2
		.amdhsa_user_sgpr_dispatch_ptr 0
		.amdhsa_user_sgpr_queue_ptr 0
		.amdhsa_user_sgpr_kernarg_segment_ptr 1
		.amdhsa_user_sgpr_dispatch_id 0
		.amdhsa_user_sgpr_kernarg_preload_length 0
		.amdhsa_user_sgpr_kernarg_preload_offset 0
		.amdhsa_user_sgpr_private_segment_size 0
		.amdhsa_uses_dynamic_stack 0
		.amdhsa_enable_private_segment 0
		.amdhsa_system_sgpr_workgroup_id_x 1
		.amdhsa_system_sgpr_workgroup_id_y 0
		.amdhsa_system_sgpr_workgroup_id_z 0
		.amdhsa_system_sgpr_workgroup_info 0
		.amdhsa_system_vgpr_workitem_id 0
		.amdhsa_next_free_vgpr 4
		.amdhsa_next_free_sgpr 6
		.amdhsa_accum_offset 4
		.amdhsa_reserve_vcc 1
		.amdhsa_float_round_mode_32 0
		.amdhsa_float_round_mode_16_64 0
		.amdhsa_float_denorm_mode_32 3
		.amdhsa_float_denorm_mode_16_64 3
		.amdhsa_dx10_clamp 1
		.amdhsa_ieee_mode 1
		.amdhsa_fp16_overflow 0
		.amdhsa_tg_split 0
		.amdhsa_exception_fp_ieee_invalid_op 0
		.amdhsa_exception_fp_denorm_src 0
		.amdhsa_exception_fp_ieee_div_zero 0
		.amdhsa_exception_fp_ieee_overflow 0
		.amdhsa_exception_fp_ieee_underflow 0
		.amdhsa_exception_fp_ieee_inexact 0
		.amdhsa_exception_int_div_zero 0
	.end_amdhsa_kernel
	.section	.text._Z16Type_to_fp8_fnuzILb1EEvPfPhm,"axG",@progbits,_Z16Type_to_fp8_fnuzILb1EEvPfPhm,comdat
.Lfunc_end10:
	.size	_Z16Type_to_fp8_fnuzILb1EEvPfPhm, .Lfunc_end10-_Z16Type_to_fp8_fnuzILb1EEvPfPhm
                                        ; -- End function
	.section	.AMDGPU.csdata,"",@progbits
; Kernel info:
; codeLenInByte = 172
; NumSgprs: 12
; NumVgprs: 4
; NumAgprs: 0
; TotalNumVgprs: 4
; ScratchSize: 0
; MemoryBound: 0
; FloatMode: 240
; IeeeMode: 1
; LDSByteSize: 0 bytes/workgroup (compile time only)
; SGPRBlocks: 1
; VGPRBlocks: 0
; NumSGPRsForWavesPerEU: 12
; NumVGPRsForWavesPerEU: 4
; AccumOffset: 4
; Occupancy: 8
; WaveLimiterHint : 0
; COMPUTE_PGM_RSRC2:SCRATCH_EN: 0
; COMPUTE_PGM_RSRC2:USER_SGPR: 2
; COMPUTE_PGM_RSRC2:TRAP_HANDLER: 0
; COMPUTE_PGM_RSRC2:TGID_X_EN: 1
; COMPUTE_PGM_RSRC2:TGID_Y_EN: 0
; COMPUTE_PGM_RSRC2:TGID_Z_EN: 0
; COMPUTE_PGM_RSRC2:TIDIG_COMP_CNT: 0
; COMPUTE_PGM_RSRC3_GFX90A:ACCUM_OFFSET: 0
; COMPUTE_PGM_RSRC3_GFX90A:TG_SPLIT: 0
	.section	.text._Z16Type_to_fp8_fnuzILb0EEvPfPhm,"axG",@progbits,_Z16Type_to_fp8_fnuzILb0EEvPfPhm,comdat
	.protected	_Z16Type_to_fp8_fnuzILb0EEvPfPhm ; -- Begin function _Z16Type_to_fp8_fnuzILb0EEvPfPhm
	.globl	_Z16Type_to_fp8_fnuzILb0EEvPfPhm
	.p2align	8
	.type	_Z16Type_to_fp8_fnuzILb0EEvPfPhm,@function
_Z16Type_to_fp8_fnuzILb0EEvPfPhm:       ; @_Z16Type_to_fp8_fnuzILb0EEvPfPhm
; %bb.0:
	s_load_dword s3, s[0:1], 0x24
	s_load_dwordx2 s[4:5], s[0:1], 0x10
	v_mov_b32_e32 v1, 0
	s_waitcnt lgkmcnt(0)
	s_and_b32 s3, s3, 0xffff
	s_mul_i32 s2, s2, s3
	v_add_u32_e32 v0, s2, v0
	v_cmp_gt_u64_e32 vcc, s[4:5], v[0:1]
	s_and_saveexec_b64 s[2:3], vcc
	s_cbranch_execz .LBB11_2
; %bb.1:
	s_load_dwordx4 s[0:3], s[0:1], 0x0
	s_waitcnt lgkmcnt(0)
	v_mov_b32_e32 v2, s0
	v_mov_b32_e32 v3, s1
	v_lshl_add_u64 v[2:3], v[0:1], 2, v[2:3]
	global_load_dword v2, v[2:3], off
	s_mov_b32 s0, 0x7f800000
	s_mov_b32 s1, 0x47600000
	v_mov_b32_e32 v3, 0xc7600000
	s_waitcnt vmcnt(0)
	v_med3_f32 v3, v2, s1, v3
	v_cmp_nlg_f32_e64 vcc, |v2|, s0
	s_nop 1
	v_cndmask_b32_e32 v2, v3, v2, vcc
	v_mov_b32_e32 v3, v1
	v_cvt_pk_bf8_f32 v3, v2, v2
	v_lshl_add_u64 v[0:1], s[2:3], 0, v[0:1]
	global_store_byte v[0:1], v3, off
.LBB11_2:
	s_endpgm
	.section	.rodata,"a",@progbits
	.p2align	6, 0x0
	.amdhsa_kernel _Z16Type_to_fp8_fnuzILb0EEvPfPhm
		.amdhsa_group_segment_fixed_size 0
		.amdhsa_private_segment_fixed_size 0
		.amdhsa_kernarg_size 280
		.amdhsa_user_sgpr_count 2
		.amdhsa_user_sgpr_dispatch_ptr 0
		.amdhsa_user_sgpr_queue_ptr 0
		.amdhsa_user_sgpr_kernarg_segment_ptr 1
		.amdhsa_user_sgpr_dispatch_id 0
		.amdhsa_user_sgpr_kernarg_preload_length 0
		.amdhsa_user_sgpr_kernarg_preload_offset 0
		.amdhsa_user_sgpr_private_segment_size 0
		.amdhsa_uses_dynamic_stack 0
		.amdhsa_enable_private_segment 0
		.amdhsa_system_sgpr_workgroup_id_x 1
		.amdhsa_system_sgpr_workgroup_id_y 0
		.amdhsa_system_sgpr_workgroup_id_z 0
		.amdhsa_system_sgpr_workgroup_info 0
		.amdhsa_system_vgpr_workitem_id 0
		.amdhsa_next_free_vgpr 4
		.amdhsa_next_free_sgpr 6
		.amdhsa_accum_offset 4
		.amdhsa_reserve_vcc 1
		.amdhsa_float_round_mode_32 0
		.amdhsa_float_round_mode_16_64 0
		.amdhsa_float_denorm_mode_32 3
		.amdhsa_float_denorm_mode_16_64 3
		.amdhsa_dx10_clamp 1
		.amdhsa_ieee_mode 1
		.amdhsa_fp16_overflow 0
		.amdhsa_tg_split 0
		.amdhsa_exception_fp_ieee_invalid_op 0
		.amdhsa_exception_fp_denorm_src 0
		.amdhsa_exception_fp_ieee_div_zero 0
		.amdhsa_exception_fp_ieee_overflow 0
		.amdhsa_exception_fp_ieee_underflow 0
		.amdhsa_exception_fp_ieee_inexact 0
		.amdhsa_exception_int_div_zero 0
	.end_amdhsa_kernel
	.section	.text._Z16Type_to_fp8_fnuzILb0EEvPfPhm,"axG",@progbits,_Z16Type_to_fp8_fnuzILb0EEvPfPhm,comdat
.Lfunc_end11:
	.size	_Z16Type_to_fp8_fnuzILb0EEvPfPhm, .Lfunc_end11-_Z16Type_to_fp8_fnuzILb0EEvPfPhm
                                        ; -- End function
	.section	.AMDGPU.csdata,"",@progbits
; Kernel info:
; codeLenInByte = 172
; NumSgprs: 12
; NumVgprs: 4
; NumAgprs: 0
; TotalNumVgprs: 4
; ScratchSize: 0
; MemoryBound: 0
; FloatMode: 240
; IeeeMode: 1
; LDSByteSize: 0 bytes/workgroup (compile time only)
; SGPRBlocks: 1
; VGPRBlocks: 0
; NumSGPRsForWavesPerEU: 12
; NumVGPRsForWavesPerEU: 4
; AccumOffset: 4
; Occupancy: 8
; WaveLimiterHint : 0
; COMPUTE_PGM_RSRC2:SCRATCH_EN: 0
; COMPUTE_PGM_RSRC2:USER_SGPR: 2
; COMPUTE_PGM_RSRC2:TRAP_HANDLER: 0
; COMPUTE_PGM_RSRC2:TGID_X_EN: 1
; COMPUTE_PGM_RSRC2:TGID_Y_EN: 0
; COMPUTE_PGM_RSRC2:TGID_Z_EN: 0
; COMPUTE_PGM_RSRC2:TIDIG_COMP_CNT: 0
; COMPUTE_PGM_RSRC3_GFX90A:ACCUM_OFFSET: 0
; COMPUTE_PGM_RSRC3_GFX90A:TG_SPLIT: 0
	.section	.text._Z20Type_to_fp8_fnuz_cvtIfLb1EEvPT_PfS2_m,"axG",@progbits,_Z20Type_to_fp8_fnuz_cvtIfLb1EEvPT_PfS2_m,comdat
	.protected	_Z20Type_to_fp8_fnuz_cvtIfLb1EEvPT_PfS2_m ; -- Begin function _Z20Type_to_fp8_fnuz_cvtIfLb1EEvPT_PfS2_m
	.globl	_Z20Type_to_fp8_fnuz_cvtIfLb1EEvPT_PfS2_m
	.p2align	8
	.type	_Z20Type_to_fp8_fnuz_cvtIfLb1EEvPT_PfS2_m,@function
_Z20Type_to_fp8_fnuz_cvtIfLb1EEvPT_PfS2_m: ; @_Z20Type_to_fp8_fnuz_cvtIfLb1EEvPT_PfS2_m
; %bb.0:
	s_load_dword s3, s[0:1], 0x2c
	s_load_dwordx8 s[4:11], s[0:1], 0x0
	v_mov_b32_e32 v1, 0
	s_waitcnt lgkmcnt(0)
	s_and_b32 s0, s3, 0xffff
	s_mul_i32 s2, s2, s0
	v_add_u32_e32 v0, s2, v0
	v_cmp_gt_u64_e32 vcc, s[10:11], v[0:1]
	s_and_saveexec_b64 s[0:1], vcc
	s_cbranch_execz .LBB12_2
; %bb.1:
	v_lshlrev_b64 v[2:3], 2, v[0:1]
	v_lshl_add_u64 v[4:5], s[4:5], 0, v[2:3]
	global_load_dword v0, v[4:5], off
	s_mov_b32 s0, 0x7f800000
	s_mov_b32 s1, 0x43700000
	v_mov_b32_e32 v4, 0xc3700000
	s_waitcnt vmcnt(0)
	v_med3_f32 v4, v0, s1, v4
	v_cmp_nlg_f32_e64 vcc, |v0|, s0
	s_nop 1
	v_cndmask_b32_e32 v0, v4, v0, vcc
	v_cvt_pk_fp8_f32 v1, v0, v0
	v_and_b32_e32 v0, 0xff, v1
	v_cvt_f32_fp8_sdwa v4, v0 src0_sel:BYTE_0
	v_lshl_add_u64 v[0:1], s[6:7], 0, v[2:3]
	v_lshl_add_u64 v[2:3], s[8:9], 0, v[2:3]
	global_store_dword v[0:1], v4, off
	global_store_dword v[2:3], v4, off
.LBB12_2:
	s_endpgm
	.section	.rodata,"a",@progbits
	.p2align	6, 0x0
	.amdhsa_kernel _Z20Type_to_fp8_fnuz_cvtIfLb1EEvPT_PfS2_m
		.amdhsa_group_segment_fixed_size 0
		.amdhsa_private_segment_fixed_size 0
		.amdhsa_kernarg_size 288
		.amdhsa_user_sgpr_count 2
		.amdhsa_user_sgpr_dispatch_ptr 0
		.amdhsa_user_sgpr_queue_ptr 0
		.amdhsa_user_sgpr_kernarg_segment_ptr 1
		.amdhsa_user_sgpr_dispatch_id 0
		.amdhsa_user_sgpr_kernarg_preload_length 0
		.amdhsa_user_sgpr_kernarg_preload_offset 0
		.amdhsa_user_sgpr_private_segment_size 0
		.amdhsa_uses_dynamic_stack 0
		.amdhsa_enable_private_segment 0
		.amdhsa_system_sgpr_workgroup_id_x 1
		.amdhsa_system_sgpr_workgroup_id_y 0
		.amdhsa_system_sgpr_workgroup_id_z 0
		.amdhsa_system_sgpr_workgroup_info 0
		.amdhsa_system_vgpr_workitem_id 0
		.amdhsa_next_free_vgpr 6
		.amdhsa_next_free_sgpr 12
		.amdhsa_accum_offset 8
		.amdhsa_reserve_vcc 1
		.amdhsa_float_round_mode_32 0
		.amdhsa_float_round_mode_16_64 0
		.amdhsa_float_denorm_mode_32 3
		.amdhsa_float_denorm_mode_16_64 3
		.amdhsa_dx10_clamp 1
		.amdhsa_ieee_mode 1
		.amdhsa_fp16_overflow 0
		.amdhsa_tg_split 0
		.amdhsa_exception_fp_ieee_invalid_op 0
		.amdhsa_exception_fp_denorm_src 0
		.amdhsa_exception_fp_ieee_div_zero 0
		.amdhsa_exception_fp_ieee_overflow 0
		.amdhsa_exception_fp_ieee_underflow 0
		.amdhsa_exception_fp_ieee_inexact 0
		.amdhsa_exception_int_div_zero 0
	.end_amdhsa_kernel
	.section	.text._Z20Type_to_fp8_fnuz_cvtIfLb1EEvPT_PfS2_m,"axG",@progbits,_Z20Type_to_fp8_fnuz_cvtIfLb1EEvPT_PfS2_m,comdat
.Lfunc_end12:
	.size	_Z20Type_to_fp8_fnuz_cvtIfLb1EEvPT_PfS2_m, .Lfunc_end12-_Z20Type_to_fp8_fnuz_cvtIfLb1EEvPT_PfS2_m
                                        ; -- End function
	.section	.AMDGPU.csdata,"",@progbits
; Kernel info:
; codeLenInByte = 188
; NumSgprs: 18
; NumVgprs: 6
; NumAgprs: 0
; TotalNumVgprs: 6
; ScratchSize: 0
; MemoryBound: 0
; FloatMode: 240
; IeeeMode: 1
; LDSByteSize: 0 bytes/workgroup (compile time only)
; SGPRBlocks: 2
; VGPRBlocks: 0
; NumSGPRsForWavesPerEU: 18
; NumVGPRsForWavesPerEU: 6
; AccumOffset: 8
; Occupancy: 8
; WaveLimiterHint : 0
; COMPUTE_PGM_RSRC2:SCRATCH_EN: 0
; COMPUTE_PGM_RSRC2:USER_SGPR: 2
; COMPUTE_PGM_RSRC2:TRAP_HANDLER: 0
; COMPUTE_PGM_RSRC2:TGID_X_EN: 1
; COMPUTE_PGM_RSRC2:TGID_Y_EN: 0
; COMPUTE_PGM_RSRC2:TGID_Z_EN: 0
; COMPUTE_PGM_RSRC2:TIDIG_COMP_CNT: 0
; COMPUTE_PGM_RSRC3_GFX90A:ACCUM_OFFSET: 1
; COMPUTE_PGM_RSRC3_GFX90A:TG_SPLIT: 0
	.section	.text._Z20Type_to_fp8_fnuz_cvtIfLb0EEvPT_PfS2_m,"axG",@progbits,_Z20Type_to_fp8_fnuz_cvtIfLb0EEvPT_PfS2_m,comdat
	.protected	_Z20Type_to_fp8_fnuz_cvtIfLb0EEvPT_PfS2_m ; -- Begin function _Z20Type_to_fp8_fnuz_cvtIfLb0EEvPT_PfS2_m
	.globl	_Z20Type_to_fp8_fnuz_cvtIfLb0EEvPT_PfS2_m
	.p2align	8
	.type	_Z20Type_to_fp8_fnuz_cvtIfLb0EEvPT_PfS2_m,@function
_Z20Type_to_fp8_fnuz_cvtIfLb0EEvPT_PfS2_m: ; @_Z20Type_to_fp8_fnuz_cvtIfLb0EEvPT_PfS2_m
; %bb.0:
	s_load_dword s3, s[0:1], 0x2c
	s_load_dwordx8 s[4:11], s[0:1], 0x0
	v_mov_b32_e32 v1, 0
	s_waitcnt lgkmcnt(0)
	s_and_b32 s0, s3, 0xffff
	s_mul_i32 s2, s2, s0
	v_add_u32_e32 v0, s2, v0
	v_cmp_gt_u64_e32 vcc, s[10:11], v[0:1]
	s_and_saveexec_b64 s[0:1], vcc
	s_cbranch_execz .LBB13_2
; %bb.1:
	v_lshlrev_b64 v[2:3], 2, v[0:1]
	v_lshl_add_u64 v[4:5], s[4:5], 0, v[2:3]
	global_load_dword v0, v[4:5], off
	s_mov_b32 s0, 0x7f800000
	s_mov_b32 s1, 0x47600000
	v_mov_b32_e32 v4, 0xc7600000
	s_waitcnt vmcnt(0)
	v_med3_f32 v4, v0, s1, v4
	v_cmp_nlg_f32_e64 vcc, |v0|, s0
	s_nop 1
	v_cndmask_b32_e32 v0, v4, v0, vcc
	v_cvt_pk_bf8_f32 v1, v0, v0
	v_and_b32_e32 v0, 0xff, v1
	v_cvt_f32_bf8_sdwa v4, v0 src0_sel:BYTE_0
	v_lshl_add_u64 v[0:1], s[6:7], 0, v[2:3]
	v_lshl_add_u64 v[2:3], s[8:9], 0, v[2:3]
	global_store_dword v[0:1], v4, off
	global_store_dword v[2:3], v4, off
.LBB13_2:
	s_endpgm
	.section	.rodata,"a",@progbits
	.p2align	6, 0x0
	.amdhsa_kernel _Z20Type_to_fp8_fnuz_cvtIfLb0EEvPT_PfS2_m
		.amdhsa_group_segment_fixed_size 0
		.amdhsa_private_segment_fixed_size 0
		.amdhsa_kernarg_size 288
		.amdhsa_user_sgpr_count 2
		.amdhsa_user_sgpr_dispatch_ptr 0
		.amdhsa_user_sgpr_queue_ptr 0
		.amdhsa_user_sgpr_kernarg_segment_ptr 1
		.amdhsa_user_sgpr_dispatch_id 0
		.amdhsa_user_sgpr_kernarg_preload_length 0
		.amdhsa_user_sgpr_kernarg_preload_offset 0
		.amdhsa_user_sgpr_private_segment_size 0
		.amdhsa_uses_dynamic_stack 0
		.amdhsa_enable_private_segment 0
		.amdhsa_system_sgpr_workgroup_id_x 1
		.amdhsa_system_sgpr_workgroup_id_y 0
		.amdhsa_system_sgpr_workgroup_id_z 0
		.amdhsa_system_sgpr_workgroup_info 0
		.amdhsa_system_vgpr_workitem_id 0
		.amdhsa_next_free_vgpr 6
		.amdhsa_next_free_sgpr 12
		.amdhsa_accum_offset 8
		.amdhsa_reserve_vcc 1
		.amdhsa_float_round_mode_32 0
		.amdhsa_float_round_mode_16_64 0
		.amdhsa_float_denorm_mode_32 3
		.amdhsa_float_denorm_mode_16_64 3
		.amdhsa_dx10_clamp 1
		.amdhsa_ieee_mode 1
		.amdhsa_fp16_overflow 0
		.amdhsa_tg_split 0
		.amdhsa_exception_fp_ieee_invalid_op 0
		.amdhsa_exception_fp_denorm_src 0
		.amdhsa_exception_fp_ieee_div_zero 0
		.amdhsa_exception_fp_ieee_overflow 0
		.amdhsa_exception_fp_ieee_underflow 0
		.amdhsa_exception_fp_ieee_inexact 0
		.amdhsa_exception_int_div_zero 0
	.end_amdhsa_kernel
	.section	.text._Z20Type_to_fp8_fnuz_cvtIfLb0EEvPT_PfS2_m,"axG",@progbits,_Z20Type_to_fp8_fnuz_cvtIfLb0EEvPT_PfS2_m,comdat
.Lfunc_end13:
	.size	_Z20Type_to_fp8_fnuz_cvtIfLb0EEvPT_PfS2_m, .Lfunc_end13-_Z20Type_to_fp8_fnuz_cvtIfLb0EEvPT_PfS2_m
                                        ; -- End function
	.section	.AMDGPU.csdata,"",@progbits
; Kernel info:
; codeLenInByte = 188
; NumSgprs: 18
; NumVgprs: 6
; NumAgprs: 0
; TotalNumVgprs: 6
; ScratchSize: 0
; MemoryBound: 0
; FloatMode: 240
; IeeeMode: 1
; LDSByteSize: 0 bytes/workgroup (compile time only)
; SGPRBlocks: 2
; VGPRBlocks: 0
; NumSGPRsForWavesPerEU: 18
; NumVGPRsForWavesPerEU: 6
; AccumOffset: 8
; Occupancy: 8
; WaveLimiterHint : 0
; COMPUTE_PGM_RSRC2:SCRATCH_EN: 0
; COMPUTE_PGM_RSRC2:USER_SGPR: 2
; COMPUTE_PGM_RSRC2:TRAP_HANDLER: 0
; COMPUTE_PGM_RSRC2:TGID_X_EN: 1
; COMPUTE_PGM_RSRC2:TGID_Y_EN: 0
; COMPUTE_PGM_RSRC2:TGID_Z_EN: 0
; COMPUTE_PGM_RSRC2:TIDIG_COMP_CNT: 0
; COMPUTE_PGM_RSRC3_GFX90A:ACCUM_OFFSET: 1
; COMPUTE_PGM_RSRC3_GFX90A:TG_SPLIT: 0
	.section	.text._Z20Type_to_fp8_fnuz_cvtIdLb1EEvPT_PfS2_m,"axG",@progbits,_Z20Type_to_fp8_fnuz_cvtIdLb1EEvPT_PfS2_m,comdat
	.protected	_Z20Type_to_fp8_fnuz_cvtIdLb1EEvPT_PfS2_m ; -- Begin function _Z20Type_to_fp8_fnuz_cvtIdLb1EEvPT_PfS2_m
	.globl	_Z20Type_to_fp8_fnuz_cvtIdLb1EEvPT_PfS2_m
	.p2align	8
	.type	_Z20Type_to_fp8_fnuz_cvtIdLb1EEvPT_PfS2_m,@function
_Z20Type_to_fp8_fnuz_cvtIdLb1EEvPT_PfS2_m: ; @_Z20Type_to_fp8_fnuz_cvtIdLb1EEvPT_PfS2_m
; %bb.0:
	s_load_dword s3, s[0:1], 0x2c
	s_load_dwordx8 s[4:11], s[0:1], 0x0
	v_mov_b32_e32 v1, 0
	s_waitcnt lgkmcnt(0)
	s_and_b32 s0, s3, 0xffff
	s_mul_i32 s2, s2, s0
	v_add_u32_e32 v0, s2, v0
	v_cmp_gt_u64_e32 vcc, s[10:11], v[0:1]
	s_and_saveexec_b64 s[0:1], vcc
	s_cbranch_execz .LBB14_26
; %bb.1:
	v_mov_b32_e32 v2, s4
	v_mov_b32_e32 v3, s5
	v_lshl_add_u64 v[2:3], v[0:1], 3, v[2:3]
	global_load_dwordx2 v[2:3], v[2:3], off
	s_mov_b32 s0, 0
	v_mov_b32_e32 v4, s6
	v_mov_b32_e32 v5, s7
	s_mov_b32 s1, 0x7ff00000
	v_mov_b32_e32 v6, v1
	v_lshl_add_u64 v[4:5], v[0:1], 2, v[4:5]
	s_waitcnt vmcnt(0)
	v_and_b32_e32 v7, 0x7ff00000, v3
	v_lshrrev_b32_e32 v11, 24, v3
	v_cmp_ne_u64_e32 vcc, s[0:1], v[6:7]
	s_and_saveexec_b64 s[0:1], vcc
	s_xor_b64 s[4:5], exec, s[0:1]
	s_cbranch_execz .LBB14_23
; %bb.2:
	s_mov_b32 s0, 1
	v_and_b32_e32 v7, 0x7fffffff, v3
	v_mov_b32_e32 v6, v2
	s_mov_b32 s1, 0x406e0000
	v_and_b32_e32 v12, 0xfffff, v3
	v_bfe_u32 v13, v3, 20, 11
	v_and_b32_e32 v10, 0x80, v11
	v_cmp_gt_u64_e32 vcc, s[0:1], v[6:7]
                                        ; implicit-def: $vgpr6
	s_and_saveexec_b64 s[0:1], vcc
	s_xor_b64 s[6:7], exec, s[0:1]
	s_cbranch_execz .LBB14_10
; %bb.3:
	v_cmp_ne_u64_e64 s[0:1], 0, v[2:3]
	v_mov_b32_e32 v6, 0
	s_and_saveexec_b64 s[10:11], s[0:1]
	s_cbranch_execz .LBB14_9
; %bb.4:
	s_movk_i32 s0, 0x3f8
	v_sub_u32_e64 v6, s0, v13 clamp
	v_mov_b32_e32 v8, 0x3f7
	v_cmp_eq_u32_e64 s[0:1], 0, v13
	v_or_b32_e32 v7, 0x100000, v12
	v_add_u32_e32 v16, 0xfffffc09, v13
	v_cndmask_b32_e64 v17, v6, v8, s[0:1]
	v_add_u32_e32 v8, 49, v17
	v_lshlrev_b64 v[8:9], v8, -1
	v_cndmask_b32_e64 v7, v7, v12, s[0:1]
	v_mov_b32_e32 v6, v2
	v_not_b32_e32 v9, v9
	v_not_b32_e32 v8, v8
	v_add_u32_e32 v14, 48, v17
	v_and_b32_e32 v9, v7, v9
	v_and_b32_e32 v8, v6, v8
	v_lshlrev_b64 v[14:15], v14, 1
	v_cmp_eq_u64_e64 s[2:3], v[8:9], v[14:15]
	v_lshrrev_b64 v[6:7], v17, v[6:7]
	v_mov_b32_e32 v8, 0xfffffc0a
	v_cndmask_b32_e64 v8, v16, v8, s[0:1]
	v_lshrrev_b32_e32 v9, 20, v7
	v_add3_u32 v14, v8, v17, v9
	v_and_b32_e32 v9, 0x20000, v7
	v_mov_b32_e32 v8, 0
	v_cmp_eq_u64_e64 s[0:1], 0, v[8:9]
	s_and_b64 s[0:1], s[0:1], s[2:3]
	v_add_u32_e32 v15, -1, v14
	v_cndmask_b32_e64 v9, 0, 1, s[0:1]
	v_sub_co_u32_e64 v16, s[0:1], v6, v9
	s_nop 1
	v_subbrev_co_u32_e64 v9, s[0:1], 0, v7, s[0:1]
	v_and_b32_e32 v17, 0x1ffff, v9
	v_lshl_add_u64 v[6:7], v[16:17], 0, v[6:7]
	v_cmp_ne_u32_e64 s[0:1], 0, v15
                                        ; implicit-def: $vgpr9
	s_and_saveexec_b64 s[2:3], s[0:1]
	s_xor_b64 s[2:3], exec, s[2:3]
; %bb.5:
	v_and_b32_e32 v9, 0x200000, v7
	v_cmp_eq_u64_e64 s[0:1], 0, v[8:9]
	v_bfe_u32 v8, v7, 21, 1
	v_lshrrev_b64 v[6:7], v8, v[6:7]
	v_cndmask_b32_e64 v9, v14, v15, s[0:1]
; %bb.6:
	s_andn2_saveexec_b64 s[0:1], s[2:3]
; %bb.7:
	v_bfe_u32 v9, v7, 20, 1
; %bb.8:
	s_or_b64 exec, exec, s[0:1]
	v_lshrrev_b32_e32 v6, 17, v7
	v_cmp_gt_i32_e64 s[0:1], 16, v9
	v_min_i32_e32 v8, 15, v9
	v_mov_b32_e32 v7, 0
	v_cndmask_b32_e64 v6, 7, v6, s[0:1]
	v_cmp_eq_u32_e64 s[0:1], 0, v9
	v_cmp_eq_u64_e64 s[2:3], 0, v[6:7]
	v_lshlrev_b32_e32 v7, 3, v8
	v_and_b32_e32 v6, 7, v6
	v_or3_b32 v6, v6, v7, v10
	s_and_b64 s[0:1], s[0:1], s[2:3]
	v_cndmask_b32_e64 v6, v6, 0, s[0:1]
.LBB14_9:
	s_or_b64 exec, exec, s[10:11]
.LBB14_10:
	s_andn2_saveexec_b64 s[0:1], s[6:7]
; %bb.11:
	v_or_b32_e32 v6, 0x7f, v11
; %bb.12:
	s_or_b64 exec, exec, s[0:1]
	v_and_b32_e32 v6, 0xff, v6
	v_cvt_f32_fp8_sdwa v6, v6 src0_sel:BYTE_0
	global_store_dword v[4:5], v6, off
	s_and_saveexec_b64 s[0:1], vcc
	s_xor_b64 s[2:3], exec, s[0:1]
	s_cbranch_execz .LBB14_20
; %bb.13:
	v_cmp_ne_u64_e32 vcc, 0, v[2:3]
	v_mov_b32_e32 v11, 0
	s_and_saveexec_b64 s[6:7], vcc
	s_cbranch_execz .LBB14_19
; %bb.14:
	s_movk_i32 s0, 0x3f8
	v_sub_u32_e64 v3, s0, v13 clamp
	v_mov_b32_e32 v5, 0x3f7
	v_cmp_eq_u32_e32 vcc, 0, v13
	v_or_b32_e32 v4, 0x100000, v12
	v_add_u32_e32 v8, 0xfffffc09, v13
	v_cndmask_b32_e32 v9, v3, v5, vcc
	v_cndmask_b32_e32 v3, v4, v12, vcc
	v_add_u32_e32 v4, 49, v9
	v_lshlrev_b64 v[4:5], v4, -1
	v_not_b32_e32 v5, v5
	v_not_b32_e32 v4, v4
	v_add_u32_e32 v6, 48, v9
	v_and_b32_e32 v5, v3, v5
	v_and_b32_e32 v4, v2, v4
	v_lshlrev_b64 v[6:7], v6, 1
	v_cmp_eq_u64_e64 s[0:1], v[4:5], v[6:7]
	v_lshrrev_b64 v[2:3], v9, v[2:3]
	v_mov_b32_e32 v4, 0xfffffc0a
	v_cndmask_b32_e32 v4, v8, v4, vcc
	v_lshrrev_b32_e32 v5, 20, v3
	v_add3_u32 v6, v4, v9, v5
	v_and_b32_e32 v5, 0x20000, v3
	v_mov_b32_e32 v4, 0
	v_cmp_eq_u64_e32 vcc, 0, v[4:5]
	s_and_b64 s[0:1], vcc, s[0:1]
	v_cndmask_b32_e64 v5, 0, 1, s[0:1]
	v_sub_co_u32_e32 v8, vcc, v2, v5
	v_add_u32_e32 v7, -1, v6
	s_nop 0
	v_subbrev_co_u32_e32 v5, vcc, 0, v3, vcc
	v_and_b32_e32 v9, 0x1ffff, v5
	v_lshl_add_u64 v[2:3], v[8:9], 0, v[2:3]
	v_cmp_ne_u32_e32 vcc, 0, v7
                                        ; implicit-def: $vgpr5
	s_and_saveexec_b64 s[0:1], vcc
	s_xor_b64 s[0:1], exec, s[0:1]
; %bb.15:
	v_and_b32_e32 v5, 0x200000, v3
	v_cmp_eq_u64_e32 vcc, 0, v[4:5]
	v_bfe_u32 v4, v3, 21, 1
	v_lshrrev_b64 v[2:3], v4, v[2:3]
	v_cndmask_b32_e32 v5, v6, v7, vcc
; %bb.16:
	s_andn2_saveexec_b64 s[0:1], s[0:1]
; %bb.17:
	v_bfe_u32 v5, v3, 20, 1
; %bb.18:
	s_or_b64 exec, exec, s[0:1]
	v_lshrrev_b32_e32 v2, 17, v3
	v_cmp_gt_i32_e32 vcc, 16, v5
	v_min_i32_e32 v4, 15, v5
	v_mov_b32_e32 v3, 0
	v_cndmask_b32_e32 v2, 7, v2, vcc
	v_cmp_eq_u32_e32 vcc, 0, v5
	v_cmp_eq_u64_e64 s[0:1], 0, v[2:3]
	v_lshlrev_b32_e32 v3, 3, v4
	v_and_b32_e32 v2, 7, v2
	v_or3_b32 v2, v2, v3, v10
	s_and_b64 s[0:1], vcc, s[0:1]
	v_cndmask_b32_e64 v11, v2, 0, s[0:1]
.LBB14_19:
	s_or_b64 exec, exec, s[6:7]
.LBB14_20:
	s_andn2_saveexec_b64 s[0:1], s[2:3]
; %bb.21:
	v_or_b32_e32 v11, 0x7f, v11
; %bb.22:
	s_or_b64 exec, exec, s[0:1]
                                        ; implicit-def: $vgpr4_vgpr5
.LBB14_23:
	s_andn2_saveexec_b64 s[0:1], s[4:5]
	s_cbranch_execz .LBB14_25
; %bb.24:
	v_cvt_f32_fp8_sdwa v2, v11 src0_sel:BYTE_0
	global_store_dword v[4:5], v2, off
.LBB14_25:
	s_or_b64 exec, exec, s[0:1]
	v_and_b32_e32 v2, 0xff, v11
	v_cvt_f32_fp8_sdwa v4, v2 src0_sel:BYTE_0
	v_mov_b32_e32 v2, s8
	v_mov_b32_e32 v3, s9
	v_lshl_add_u64 v[0:1], v[0:1], 2, v[2:3]
	global_store_dword v[0:1], v4, off
.LBB14_26:
	s_endpgm
	.section	.rodata,"a",@progbits
	.p2align	6, 0x0
	.amdhsa_kernel _Z20Type_to_fp8_fnuz_cvtIdLb1EEvPT_PfS2_m
		.amdhsa_group_segment_fixed_size 0
		.amdhsa_private_segment_fixed_size 0
		.amdhsa_kernarg_size 288
		.amdhsa_user_sgpr_count 2
		.amdhsa_user_sgpr_dispatch_ptr 0
		.amdhsa_user_sgpr_queue_ptr 0
		.amdhsa_user_sgpr_kernarg_segment_ptr 1
		.amdhsa_user_sgpr_dispatch_id 0
		.amdhsa_user_sgpr_kernarg_preload_length 0
		.amdhsa_user_sgpr_kernarg_preload_offset 0
		.amdhsa_user_sgpr_private_segment_size 0
		.amdhsa_uses_dynamic_stack 0
		.amdhsa_enable_private_segment 0
		.amdhsa_system_sgpr_workgroup_id_x 1
		.amdhsa_system_sgpr_workgroup_id_y 0
		.amdhsa_system_sgpr_workgroup_id_z 0
		.amdhsa_system_sgpr_workgroup_info 0
		.amdhsa_system_vgpr_workitem_id 0
		.amdhsa_next_free_vgpr 18
		.amdhsa_next_free_sgpr 12
		.amdhsa_accum_offset 20
		.amdhsa_reserve_vcc 1
		.amdhsa_float_round_mode_32 0
		.amdhsa_float_round_mode_16_64 0
		.amdhsa_float_denorm_mode_32 3
		.amdhsa_float_denorm_mode_16_64 3
		.amdhsa_dx10_clamp 1
		.amdhsa_ieee_mode 1
		.amdhsa_fp16_overflow 0
		.amdhsa_tg_split 0
		.amdhsa_exception_fp_ieee_invalid_op 0
		.amdhsa_exception_fp_denorm_src 0
		.amdhsa_exception_fp_ieee_div_zero 0
		.amdhsa_exception_fp_ieee_overflow 0
		.amdhsa_exception_fp_ieee_underflow 0
		.amdhsa_exception_fp_ieee_inexact 0
		.amdhsa_exception_int_div_zero 0
	.end_amdhsa_kernel
	.section	.text._Z20Type_to_fp8_fnuz_cvtIdLb1EEvPT_PfS2_m,"axG",@progbits,_Z20Type_to_fp8_fnuz_cvtIdLb1EEvPT_PfS2_m,comdat
.Lfunc_end14:
	.size	_Z20Type_to_fp8_fnuz_cvtIdLb1EEvPT_PfS2_m, .Lfunc_end14-_Z20Type_to_fp8_fnuz_cvtIdLb1EEvPT_PfS2_m
                                        ; -- End function
	.section	.AMDGPU.csdata,"",@progbits
; Kernel info:
; codeLenInByte = 1060
; NumSgprs: 18
; NumVgprs: 18
; NumAgprs: 0
; TotalNumVgprs: 18
; ScratchSize: 0
; MemoryBound: 0
; FloatMode: 240
; IeeeMode: 1
; LDSByteSize: 0 bytes/workgroup (compile time only)
; SGPRBlocks: 2
; VGPRBlocks: 2
; NumSGPRsForWavesPerEU: 18
; NumVGPRsForWavesPerEU: 18
; AccumOffset: 20
; Occupancy: 8
; WaveLimiterHint : 0
; COMPUTE_PGM_RSRC2:SCRATCH_EN: 0
; COMPUTE_PGM_RSRC2:USER_SGPR: 2
; COMPUTE_PGM_RSRC2:TRAP_HANDLER: 0
; COMPUTE_PGM_RSRC2:TGID_X_EN: 1
; COMPUTE_PGM_RSRC2:TGID_Y_EN: 0
; COMPUTE_PGM_RSRC2:TGID_Z_EN: 0
; COMPUTE_PGM_RSRC2:TIDIG_COMP_CNT: 0
; COMPUTE_PGM_RSRC3_GFX90A:ACCUM_OFFSET: 4
; COMPUTE_PGM_RSRC3_GFX90A:TG_SPLIT: 0
	.section	.text._Z20Type_to_fp8_fnuz_cvtIdLb0EEvPT_PfS2_m,"axG",@progbits,_Z20Type_to_fp8_fnuz_cvtIdLb0EEvPT_PfS2_m,comdat
	.protected	_Z20Type_to_fp8_fnuz_cvtIdLb0EEvPT_PfS2_m ; -- Begin function _Z20Type_to_fp8_fnuz_cvtIdLb0EEvPT_PfS2_m
	.globl	_Z20Type_to_fp8_fnuz_cvtIdLb0EEvPT_PfS2_m
	.p2align	8
	.type	_Z20Type_to_fp8_fnuz_cvtIdLb0EEvPT_PfS2_m,@function
_Z20Type_to_fp8_fnuz_cvtIdLb0EEvPT_PfS2_m: ; @_Z20Type_to_fp8_fnuz_cvtIdLb0EEvPT_PfS2_m
; %bb.0:
	s_load_dword s3, s[0:1], 0x2c
	s_load_dwordx8 s[4:11], s[0:1], 0x0
	v_mov_b32_e32 v1, 0
	s_waitcnt lgkmcnt(0)
	s_and_b32 s0, s3, 0xffff
	s_mul_i32 s2, s2, s0
	v_add_u32_e32 v0, s2, v0
	v_cmp_gt_u64_e32 vcc, s[10:11], v[0:1]
	s_and_saveexec_b64 s[0:1], vcc
	s_cbranch_execz .LBB15_26
; %bb.1:
	v_mov_b32_e32 v2, s4
	v_mov_b32_e32 v3, s5
	v_lshl_add_u64 v[2:3], v[0:1], 3, v[2:3]
	global_load_dwordx2 v[2:3], v[2:3], off
	s_mov_b32 s0, 0
	v_mov_b32_e32 v4, s6
	v_mov_b32_e32 v5, s7
	s_mov_b32 s1, 0x7ff00000
	v_mov_b32_e32 v6, v1
	v_lshl_add_u64 v[4:5], v[0:1], 2, v[4:5]
	s_waitcnt vmcnt(0)
	v_and_b32_e32 v7, 0x7ff00000, v3
	v_lshrrev_b32_e32 v11, 24, v3
	v_cmp_ne_u64_e32 vcc, s[0:1], v[6:7]
	s_and_saveexec_b64 s[0:1], vcc
	s_xor_b64 s[4:5], exec, s[0:1]
	s_cbranch_execz .LBB15_23
; %bb.2:
	s_mov_b32 s0, 1
	v_and_b32_e32 v7, 0x7fffffff, v3
	v_mov_b32_e32 v6, v2
	s_mov_b32 s1, 0x40ec0000
	v_and_b32_e32 v12, 0xfffff, v3
	v_bfe_u32 v13, v3, 20, 11
	v_and_b32_e32 v10, 0x80, v11
	v_cmp_gt_u64_e32 vcc, s[0:1], v[6:7]
                                        ; implicit-def: $vgpr6
	s_and_saveexec_b64 s[0:1], vcc
	s_xor_b64 s[6:7], exec, s[0:1]
	s_cbranch_execz .LBB15_10
; %bb.3:
	v_cmp_ne_u64_e64 s[0:1], 0, v[2:3]
	v_mov_b32_e32 v6, 0
	s_and_saveexec_b64 s[10:11], s[0:1]
	s_cbranch_execz .LBB15_9
; %bb.4:
	s_movk_i32 s0, 0x3f0
	v_sub_u32_e64 v6, s0, v13 clamp
	v_mov_b32_e32 v8, 0x3ef
	v_cmp_eq_u32_e64 s[0:1], 0, v13
	v_or_b32_e32 v7, 0x100000, v12
	v_add_u32_e32 v16, 0xfffffc11, v13
	v_cndmask_b32_e64 v17, v6, v8, s[0:1]
	v_add_u32_e32 v8, 50, v17
	v_lshlrev_b64 v[8:9], v8, -1
	v_cndmask_b32_e64 v7, v7, v12, s[0:1]
	v_mov_b32_e32 v6, v2
	v_not_b32_e32 v9, v9
	v_not_b32_e32 v8, v8
	v_add_u32_e32 v14, 49, v17
	v_and_b32_e32 v9, v7, v9
	v_and_b32_e32 v8, v6, v8
	v_lshlrev_b64 v[14:15], v14, 1
	v_cmp_eq_u64_e64 s[2:3], v[8:9], v[14:15]
	v_lshrrev_b64 v[6:7], v17, v[6:7]
	v_mov_b32_e32 v8, 0xfffffc12
	v_cndmask_b32_e64 v8, v16, v8, s[0:1]
	v_lshrrev_b32_e32 v9, 20, v7
	v_add3_u32 v14, v8, v17, v9
	v_and_b32_e32 v9, 0x40000, v7
	v_mov_b32_e32 v8, 0
	v_cmp_eq_u64_e64 s[0:1], 0, v[8:9]
	s_and_b64 s[0:1], s[0:1], s[2:3]
	v_add_u32_e32 v15, -1, v14
	v_cndmask_b32_e64 v9, 0, 1, s[0:1]
	v_sub_co_u32_e64 v16, s[0:1], v6, v9
	s_nop 1
	v_subbrev_co_u32_e64 v9, s[0:1], 0, v7, s[0:1]
	v_and_b32_e32 v17, 0x3ffff, v9
	v_lshl_add_u64 v[6:7], v[16:17], 0, v[6:7]
	v_cmp_ne_u32_e64 s[0:1], 0, v15
                                        ; implicit-def: $vgpr9
	s_and_saveexec_b64 s[2:3], s[0:1]
	s_xor_b64 s[2:3], exec, s[2:3]
; %bb.5:
	v_and_b32_e32 v9, 0x200000, v7
	v_cmp_eq_u64_e64 s[0:1], 0, v[8:9]
	v_bfe_u32 v8, v7, 21, 1
	v_lshrrev_b64 v[6:7], v8, v[6:7]
	v_cndmask_b32_e64 v9, v14, v15, s[0:1]
; %bb.6:
	s_andn2_saveexec_b64 s[0:1], s[2:3]
; %bb.7:
	v_bfe_u32 v9, v7, 20, 1
; %bb.8:
	s_or_b64 exec, exec, s[0:1]
	v_lshrrev_b32_e32 v6, 18, v7
	v_cmp_gt_i32_e64 s[0:1], 32, v9
	v_min_i32_e32 v8, 31, v9
	v_mov_b32_e32 v7, 0
	v_cndmask_b32_e64 v6, 3, v6, s[0:1]
	v_cmp_eq_u32_e64 s[0:1], 0, v9
	v_cmp_eq_u64_e64 s[2:3], 0, v[6:7]
	v_lshlrev_b32_e32 v7, 2, v8
	v_and_b32_e32 v6, 3, v6
	v_or3_b32 v6, v6, v7, v10
	s_and_b64 s[0:1], s[0:1], s[2:3]
	v_cndmask_b32_e64 v6, v6, 0, s[0:1]
.LBB15_9:
	s_or_b64 exec, exec, s[10:11]
.LBB15_10:
	s_andn2_saveexec_b64 s[0:1], s[6:7]
; %bb.11:
	v_or_b32_e32 v6, 0x7f, v11
; %bb.12:
	s_or_b64 exec, exec, s[0:1]
	v_and_b32_e32 v6, 0xff, v6
	v_cvt_f32_bf8_sdwa v6, v6 src0_sel:BYTE_0
	global_store_dword v[4:5], v6, off
	s_and_saveexec_b64 s[0:1], vcc
	s_xor_b64 s[2:3], exec, s[0:1]
	s_cbranch_execz .LBB15_20
; %bb.13:
	v_cmp_ne_u64_e32 vcc, 0, v[2:3]
	v_mov_b32_e32 v11, 0
	s_and_saveexec_b64 s[6:7], vcc
	s_cbranch_execz .LBB15_19
; %bb.14:
	s_movk_i32 s0, 0x3f0
	v_sub_u32_e64 v3, s0, v13 clamp
	v_mov_b32_e32 v5, 0x3ef
	v_cmp_eq_u32_e32 vcc, 0, v13
	v_or_b32_e32 v4, 0x100000, v12
	v_add_u32_e32 v8, 0xfffffc11, v13
	v_cndmask_b32_e32 v9, v3, v5, vcc
	v_cndmask_b32_e32 v3, v4, v12, vcc
	v_add_u32_e32 v4, 50, v9
	v_lshlrev_b64 v[4:5], v4, -1
	v_not_b32_e32 v5, v5
	v_not_b32_e32 v4, v4
	v_add_u32_e32 v6, 49, v9
	v_and_b32_e32 v5, v3, v5
	v_and_b32_e32 v4, v2, v4
	v_lshlrev_b64 v[6:7], v6, 1
	v_cmp_eq_u64_e64 s[0:1], v[4:5], v[6:7]
	v_lshrrev_b64 v[2:3], v9, v[2:3]
	v_mov_b32_e32 v4, 0xfffffc12
	v_cndmask_b32_e32 v4, v8, v4, vcc
	v_lshrrev_b32_e32 v5, 20, v3
	v_add3_u32 v6, v4, v9, v5
	v_and_b32_e32 v5, 0x40000, v3
	v_mov_b32_e32 v4, 0
	v_cmp_eq_u64_e32 vcc, 0, v[4:5]
	s_and_b64 s[0:1], vcc, s[0:1]
	v_cndmask_b32_e64 v5, 0, 1, s[0:1]
	v_sub_co_u32_e32 v8, vcc, v2, v5
	v_add_u32_e32 v7, -1, v6
	s_nop 0
	v_subbrev_co_u32_e32 v5, vcc, 0, v3, vcc
	v_and_b32_e32 v9, 0x3ffff, v5
	v_lshl_add_u64 v[2:3], v[8:9], 0, v[2:3]
	v_cmp_ne_u32_e32 vcc, 0, v7
                                        ; implicit-def: $vgpr5
	s_and_saveexec_b64 s[0:1], vcc
	s_xor_b64 s[0:1], exec, s[0:1]
; %bb.15:
	v_and_b32_e32 v5, 0x200000, v3
	v_cmp_eq_u64_e32 vcc, 0, v[4:5]
	v_bfe_u32 v4, v3, 21, 1
	v_lshrrev_b64 v[2:3], v4, v[2:3]
	v_cndmask_b32_e32 v5, v6, v7, vcc
; %bb.16:
	s_andn2_saveexec_b64 s[0:1], s[0:1]
; %bb.17:
	v_bfe_u32 v5, v3, 20, 1
; %bb.18:
	s_or_b64 exec, exec, s[0:1]
	v_lshrrev_b32_e32 v2, 18, v3
	v_cmp_gt_i32_e32 vcc, 32, v5
	v_min_i32_e32 v4, 31, v5
	v_mov_b32_e32 v3, 0
	v_cndmask_b32_e32 v2, 3, v2, vcc
	v_cmp_eq_u32_e32 vcc, 0, v5
	v_cmp_eq_u64_e64 s[0:1], 0, v[2:3]
	v_lshlrev_b32_e32 v3, 2, v4
	v_and_b32_e32 v2, 3, v2
	v_or3_b32 v2, v2, v3, v10
	s_and_b64 s[0:1], vcc, s[0:1]
	v_cndmask_b32_e64 v11, v2, 0, s[0:1]
.LBB15_19:
	s_or_b64 exec, exec, s[6:7]
.LBB15_20:
	s_andn2_saveexec_b64 s[0:1], s[2:3]
; %bb.21:
	v_or_b32_e32 v11, 0x7f, v11
; %bb.22:
	s_or_b64 exec, exec, s[0:1]
                                        ; implicit-def: $vgpr4_vgpr5
.LBB15_23:
	s_andn2_saveexec_b64 s[0:1], s[4:5]
	s_cbranch_execz .LBB15_25
; %bb.24:
	v_cvt_f32_bf8_sdwa v2, v11 src0_sel:BYTE_0
	global_store_dword v[4:5], v2, off
.LBB15_25:
	s_or_b64 exec, exec, s[0:1]
	v_and_b32_e32 v2, 0xff, v11
	v_cvt_f32_bf8_sdwa v4, v2 src0_sel:BYTE_0
	v_mov_b32_e32 v2, s8
	v_mov_b32_e32 v3, s9
	v_lshl_add_u64 v[0:1], v[0:1], 2, v[2:3]
	global_store_dword v[0:1], v4, off
.LBB15_26:
	s_endpgm
	.section	.rodata,"a",@progbits
	.p2align	6, 0x0
	.amdhsa_kernel _Z20Type_to_fp8_fnuz_cvtIdLb0EEvPT_PfS2_m
		.amdhsa_group_segment_fixed_size 0
		.amdhsa_private_segment_fixed_size 0
		.amdhsa_kernarg_size 288
		.amdhsa_user_sgpr_count 2
		.amdhsa_user_sgpr_dispatch_ptr 0
		.amdhsa_user_sgpr_queue_ptr 0
		.amdhsa_user_sgpr_kernarg_segment_ptr 1
		.amdhsa_user_sgpr_dispatch_id 0
		.amdhsa_user_sgpr_kernarg_preload_length 0
		.amdhsa_user_sgpr_kernarg_preload_offset 0
		.amdhsa_user_sgpr_private_segment_size 0
		.amdhsa_uses_dynamic_stack 0
		.amdhsa_enable_private_segment 0
		.amdhsa_system_sgpr_workgroup_id_x 1
		.amdhsa_system_sgpr_workgroup_id_y 0
		.amdhsa_system_sgpr_workgroup_id_z 0
		.amdhsa_system_sgpr_workgroup_info 0
		.amdhsa_system_vgpr_workitem_id 0
		.amdhsa_next_free_vgpr 18
		.amdhsa_next_free_sgpr 12
		.amdhsa_accum_offset 20
		.amdhsa_reserve_vcc 1
		.amdhsa_float_round_mode_32 0
		.amdhsa_float_round_mode_16_64 0
		.amdhsa_float_denorm_mode_32 3
		.amdhsa_float_denorm_mode_16_64 3
		.amdhsa_dx10_clamp 1
		.amdhsa_ieee_mode 1
		.amdhsa_fp16_overflow 0
		.amdhsa_tg_split 0
		.amdhsa_exception_fp_ieee_invalid_op 0
		.amdhsa_exception_fp_denorm_src 0
		.amdhsa_exception_fp_ieee_div_zero 0
		.amdhsa_exception_fp_ieee_overflow 0
		.amdhsa_exception_fp_ieee_underflow 0
		.amdhsa_exception_fp_ieee_inexact 0
		.amdhsa_exception_int_div_zero 0
	.end_amdhsa_kernel
	.section	.text._Z20Type_to_fp8_fnuz_cvtIdLb0EEvPT_PfS2_m,"axG",@progbits,_Z20Type_to_fp8_fnuz_cvtIdLb0EEvPT_PfS2_m,comdat
.Lfunc_end15:
	.size	_Z20Type_to_fp8_fnuz_cvtIdLb0EEvPT_PfS2_m, .Lfunc_end15-_Z20Type_to_fp8_fnuz_cvtIdLb0EEvPT_PfS2_m
                                        ; -- End function
	.section	.AMDGPU.csdata,"",@progbits
; Kernel info:
; codeLenInByte = 1060
; NumSgprs: 18
; NumVgprs: 18
; NumAgprs: 0
; TotalNumVgprs: 18
; ScratchSize: 0
; MemoryBound: 0
; FloatMode: 240
; IeeeMode: 1
; LDSByteSize: 0 bytes/workgroup (compile time only)
; SGPRBlocks: 2
; VGPRBlocks: 2
; NumSGPRsForWavesPerEU: 18
; NumVGPRsForWavesPerEU: 18
; AccumOffset: 20
; Occupancy: 8
; WaveLimiterHint : 0
; COMPUTE_PGM_RSRC2:SCRATCH_EN: 0
; COMPUTE_PGM_RSRC2:USER_SGPR: 2
; COMPUTE_PGM_RSRC2:TRAP_HANDLER: 0
; COMPUTE_PGM_RSRC2:TGID_X_EN: 1
; COMPUTE_PGM_RSRC2:TGID_Y_EN: 0
; COMPUTE_PGM_RSRC2:TGID_Z_EN: 0
; COMPUTE_PGM_RSRC2:TIDIG_COMP_CNT: 0
; COMPUTE_PGM_RSRC3_GFX90A:ACCUM_OFFSET: 4
; COMPUTE_PGM_RSRC3_GFX90A:TG_SPLIT: 0
	.text
	.p2alignl 6, 3212836864
	.fill 256, 4, 3212836864
	.type	__hip_cuid_17ade6b07579ba8e,@object ; @__hip_cuid_17ade6b07579ba8e
	.section	.bss,"aw",@nobits
	.globl	__hip_cuid_17ade6b07579ba8e
__hip_cuid_17ade6b07579ba8e:
	.byte	0                               ; 0x0
	.size	__hip_cuid_17ade6b07579ba8e, 1

	.ident	"AMD clang version 19.0.0git (https://github.com/RadeonOpenCompute/llvm-project roc-6.4.0 25133 c7fe45cf4b819c5991fe208aaa96edf142730f1d)"
	.section	".note.GNU-stack","",@progbits
	.addrsig
	.addrsig_sym __hip_cuid_17ade6b07579ba8e
	.amdgpu_metadata
---
amdhsa.kernels:
  - .agpr_count:     0
    .args:
      - .address_space:  global
        .offset:         0
        .size:           8
        .value_kind:     global_buffer
      - .offset:         8
        .size:           8
        .value_kind:     by_value
    .group_segment_fixed_size: 0
    .kernarg_segment_align: 8
    .kernarg_segment_size: 16
    .language:       OpenCL C
    .language_version:
      - 2
      - 0
    .max_flat_workgroup_size: 1024
    .name:           _Z24cvt_float_fp8_float_fnuzIfLb1EEvPT_m
    .private_segment_fixed_size: 0
    .sgpr_count:     10
    .sgpr_spill_count: 0
    .symbol:         _Z24cvt_float_fp8_float_fnuzIfLb1EEvPT_m.kd
    .uniform_work_group_size: 1
    .uses_dynamic_stack: false
    .vgpr_count:     4
    .vgpr_spill_count: 0
    .wavefront_size: 64
  - .agpr_count:     0
    .args:
      - .address_space:  global
        .offset:         0
        .size:           8
        .value_kind:     global_buffer
      - .offset:         8
        .size:           8
        .value_kind:     by_value
    .group_segment_fixed_size: 0
    .kernarg_segment_align: 8
    .kernarg_segment_size: 16
    .language:       OpenCL C
    .language_version:
      - 2
      - 0
    .max_flat_workgroup_size: 1024
    .name:           _Z24cvt_float_fp8_float_fnuzIfLb0EEvPT_m
    .private_segment_fixed_size: 0
    .sgpr_count:     10
    .sgpr_spill_count: 0
    .symbol:         _Z24cvt_float_fp8_float_fnuzIfLb0EEvPT_m.kd
    .uniform_work_group_size: 1
    .uses_dynamic_stack: false
    .vgpr_count:     4
    .vgpr_spill_count: 0
    .wavefront_size: 64
  - .agpr_count:     0
    .args:
      - .address_space:  global
        .offset:         0
        .size:           8
        .value_kind:     global_buffer
      - .offset:         8
        .size:           8
        .value_kind:     by_value
    .group_segment_fixed_size: 0
    .kernarg_segment_align: 8
    .kernarg_segment_size: 16
    .language:       OpenCL C
    .language_version:
      - 2
      - 0
    .max_flat_workgroup_size: 1024
    .name:           _Z24cvt_float_fp8_float_fnuzIdLb1EEvPT_m
    .private_segment_fixed_size: 0
    .sgpr_count:     16
    .sgpr_spill_count: 0
    .symbol:         _Z24cvt_float_fp8_float_fnuzIdLb1EEvPT_m.kd
    .uniform_work_group_size: 1
    .uses_dynamic_stack: false
    .vgpr_count:     12
    .vgpr_spill_count: 0
    .wavefront_size: 64
  - .agpr_count:     0
    .args:
      - .address_space:  global
        .offset:         0
        .size:           8
        .value_kind:     global_buffer
      - .offset:         8
        .size:           8
        .value_kind:     by_value
    .group_segment_fixed_size: 0
    .kernarg_segment_align: 8
    .kernarg_segment_size: 16
    .language:       OpenCL C
    .language_version:
      - 2
      - 0
    .max_flat_workgroup_size: 1024
    .name:           _Z24cvt_float_fp8_float_fnuzIdLb0EEvPT_m
    .private_segment_fixed_size: 0
    .sgpr_count:     16
    .sgpr_spill_count: 0
    .symbol:         _Z24cvt_float_fp8_float_fnuzIdLb0EEvPT_m.kd
    .uniform_work_group_size: 1
    .uses_dynamic_stack: false
    .vgpr_count:     12
    .vgpr_spill_count: 0
    .wavefront_size: 64
  - .agpr_count:     0
    .args:
      - .address_space:  global
        .offset:         0
        .size:           8
        .value_kind:     global_buffer
      - .offset:         8
        .size:           8
        .value_kind:     by_value
    .group_segment_fixed_size: 0
    .kernarg_segment_align: 8
    .kernarg_segment_size: 16
    .language:       OpenCL C
    .language_version:
      - 2
      - 0
    .max_flat_workgroup_size: 1024
    .name:           _Z28cvt_float2_fp8x2_float2_fnuzILb1EEvP15HIP_vector_typeIfLj2EEm
    .private_segment_fixed_size: 0
    .sgpr_count:     10
    .sgpr_spill_count: 0
    .symbol:         _Z28cvt_float2_fp8x2_float2_fnuzILb1EEvP15HIP_vector_typeIfLj2EEm.kd
    .uniform_work_group_size: 1
    .uses_dynamic_stack: false
    .vgpr_count:     5
    .vgpr_spill_count: 0
    .wavefront_size: 64
  - .agpr_count:     0
    .args:
      - .address_space:  global
        .offset:         0
        .size:           8
        .value_kind:     global_buffer
      - .offset:         8
        .size:           8
        .value_kind:     by_value
    .group_segment_fixed_size: 0
    .kernarg_segment_align: 8
    .kernarg_segment_size: 16
    .language:       OpenCL C
    .language_version:
      - 2
      - 0
    .max_flat_workgroup_size: 1024
    .name:           _Z28cvt_float2_fp8x2_float2_fnuzILb0EEvP15HIP_vector_typeIfLj2EEm
    .private_segment_fixed_size: 0
    .sgpr_count:     10
    .sgpr_spill_count: 0
    .symbol:         _Z28cvt_float2_fp8x2_float2_fnuzILb0EEvP15HIP_vector_typeIfLj2EEm.kd
    .uniform_work_group_size: 1
    .uses_dynamic_stack: false
    .vgpr_count:     5
    .vgpr_spill_count: 0
    .wavefront_size: 64
  - .agpr_count:     0
    .args:
      - .address_space:  global
        .offset:         0
        .size:           8
        .value_kind:     global_buffer
      - .offset:         8
        .size:           8
        .value_kind:     by_value
    .group_segment_fixed_size: 0
    .kernarg_segment_align: 8
    .kernarg_segment_size: 16
    .language:       OpenCL C
    .language_version:
      - 2
      - 0
    .max_flat_workgroup_size: 1024
    .name:           _Z28cvt_float4_fp8x4_float4_fnuzILb1EEvP15HIP_vector_typeIfLj4EEm
    .private_segment_fixed_size: 0
    .sgpr_count:     12
    .sgpr_spill_count: 0
    .symbol:         _Z28cvt_float4_fp8x4_float4_fnuzILb1EEvP15HIP_vector_typeIfLj4EEm.kd
    .uniform_work_group_size: 1
    .uses_dynamic_stack: false
    .vgpr_count:     13
    .vgpr_spill_count: 0
    .wavefront_size: 64
  - .agpr_count:     0
    .args:
      - .address_space:  global
        .offset:         0
        .size:           8
        .value_kind:     global_buffer
      - .offset:         8
        .size:           8
        .value_kind:     by_value
    .group_segment_fixed_size: 0
    .kernarg_segment_align: 8
    .kernarg_segment_size: 16
    .language:       OpenCL C
    .language_version:
      - 2
      - 0
    .max_flat_workgroup_size: 1024
    .name:           _Z28cvt_float4_fp8x4_float4_fnuzILb0EEvP15HIP_vector_typeIfLj4EEm
    .private_segment_fixed_size: 0
    .sgpr_count:     12
    .sgpr_spill_count: 0
    .symbol:         _Z28cvt_float4_fp8x4_float4_fnuzILb0EEvP15HIP_vector_typeIfLj4EEm.kd
    .uniform_work_group_size: 1
    .uses_dynamic_stack: false
    .vgpr_count:     13
    .vgpr_spill_count: 0
    .wavefront_size: 64
  - .agpr_count:     0
    .args:
      - .address_space:  global
        .offset:         0
        .size:           8
        .value_kind:     global_buffer
      - .address_space:  global
        .offset:         8
        .size:           8
        .value_kind:     global_buffer
      - .offset:         16
        .size:           8
        .value_kind:     by_value
    .group_segment_fixed_size: 0
    .kernarg_segment_align: 8
    .kernarg_segment_size: 24
    .language:       OpenCL C
    .language_version:
      - 2
      - 0
    .max_flat_workgroup_size: 1024
    .name:           _Z15fp8_2_bool_fnuzILb1EEvPfPbm
    .private_segment_fixed_size: 0
    .sgpr_count:     10
    .sgpr_spill_count: 0
    .symbol:         _Z15fp8_2_bool_fnuzILb1EEvPfPbm.kd
    .uniform_work_group_size: 1
    .uses_dynamic_stack: false
    .vgpr_count:     5
    .vgpr_spill_count: 0
    .wavefront_size: 64
  - .agpr_count:     0
    .args:
      - .address_space:  global
        .offset:         0
        .size:           8
        .value_kind:     global_buffer
      - .address_space:  global
        .offset:         8
        .size:           8
        .value_kind:     global_buffer
      - .offset:         16
        .size:           8
        .value_kind:     by_value
    .group_segment_fixed_size: 0
    .kernarg_segment_align: 8
    .kernarg_segment_size: 24
    .language:       OpenCL C
    .language_version:
      - 2
      - 0
    .max_flat_workgroup_size: 1024
    .name:           _Z15fp8_2_bool_fnuzILb0EEvPfPbm
    .private_segment_fixed_size: 0
    .sgpr_count:     10
    .sgpr_spill_count: 0
    .symbol:         _Z15fp8_2_bool_fnuzILb0EEvPfPbm.kd
    .uniform_work_group_size: 1
    .uses_dynamic_stack: false
    .vgpr_count:     5
    .vgpr_spill_count: 0
    .wavefront_size: 64
  - .agpr_count:     0
    .args:
      - .address_space:  global
        .offset:         0
        .size:           8
        .value_kind:     global_buffer
      - .address_space:  global
        .offset:         8
        .size:           8
        .value_kind:     global_buffer
      - .offset:         16
        .size:           8
        .value_kind:     by_value
      - .offset:         24
        .size:           4
        .value_kind:     hidden_block_count_x
      - .offset:         28
        .size:           4
        .value_kind:     hidden_block_count_y
      - .offset:         32
        .size:           4
        .value_kind:     hidden_block_count_z
      - .offset:         36
        .size:           2
        .value_kind:     hidden_group_size_x
      - .offset:         38
        .size:           2
        .value_kind:     hidden_group_size_y
      - .offset:         40
        .size:           2
        .value_kind:     hidden_group_size_z
      - .offset:         42
        .size:           2
        .value_kind:     hidden_remainder_x
      - .offset:         44
        .size:           2
        .value_kind:     hidden_remainder_y
      - .offset:         46
        .size:           2
        .value_kind:     hidden_remainder_z
      - .offset:         64
        .size:           8
        .value_kind:     hidden_global_offset_x
      - .offset:         72
        .size:           8
        .value_kind:     hidden_global_offset_y
      - .offset:         80
        .size:           8
        .value_kind:     hidden_global_offset_z
      - .offset:         88
        .size:           2
        .value_kind:     hidden_grid_dims
    .group_segment_fixed_size: 0
    .kernarg_segment_align: 8
    .kernarg_segment_size: 280
    .language:       OpenCL C
    .language_version:
      - 2
      - 0
    .max_flat_workgroup_size: 1024
    .name:           _Z16Type_to_fp8_fnuzILb1EEvPfPhm
    .private_segment_fixed_size: 0
    .sgpr_count:     12
    .sgpr_spill_count: 0
    .symbol:         _Z16Type_to_fp8_fnuzILb1EEvPfPhm.kd
    .uniform_work_group_size: 1
    .uses_dynamic_stack: false
    .vgpr_count:     4
    .vgpr_spill_count: 0
    .wavefront_size: 64
  - .agpr_count:     0
    .args:
      - .address_space:  global
        .offset:         0
        .size:           8
        .value_kind:     global_buffer
      - .address_space:  global
        .offset:         8
        .size:           8
        .value_kind:     global_buffer
      - .offset:         16
        .size:           8
        .value_kind:     by_value
      - .offset:         24
        .size:           4
        .value_kind:     hidden_block_count_x
      - .offset:         28
        .size:           4
        .value_kind:     hidden_block_count_y
      - .offset:         32
        .size:           4
        .value_kind:     hidden_block_count_z
      - .offset:         36
        .size:           2
        .value_kind:     hidden_group_size_x
      - .offset:         38
        .size:           2
        .value_kind:     hidden_group_size_y
      - .offset:         40
        .size:           2
        .value_kind:     hidden_group_size_z
      - .offset:         42
        .size:           2
        .value_kind:     hidden_remainder_x
      - .offset:         44
        .size:           2
        .value_kind:     hidden_remainder_y
      - .offset:         46
        .size:           2
        .value_kind:     hidden_remainder_z
      - .offset:         64
        .size:           8
        .value_kind:     hidden_global_offset_x
      - .offset:         72
        .size:           8
        .value_kind:     hidden_global_offset_y
      - .offset:         80
        .size:           8
        .value_kind:     hidden_global_offset_z
      - .offset:         88
        .size:           2
        .value_kind:     hidden_grid_dims
    .group_segment_fixed_size: 0
    .kernarg_segment_align: 8
    .kernarg_segment_size: 280
    .language:       OpenCL C
    .language_version:
      - 2
      - 0
    .max_flat_workgroup_size: 1024
    .name:           _Z16Type_to_fp8_fnuzILb0EEvPfPhm
    .private_segment_fixed_size: 0
    .sgpr_count:     12
    .sgpr_spill_count: 0
    .symbol:         _Z16Type_to_fp8_fnuzILb0EEvPfPhm.kd
    .uniform_work_group_size: 1
    .uses_dynamic_stack: false
    .vgpr_count:     4
    .vgpr_spill_count: 0
    .wavefront_size: 64
  - .agpr_count:     0
    .args:
      - .address_space:  global
        .offset:         0
        .size:           8
        .value_kind:     global_buffer
      - .address_space:  global
        .offset:         8
        .size:           8
        .value_kind:     global_buffer
      - .address_space:  global
        .offset:         16
        .size:           8
        .value_kind:     global_buffer
      - .offset:         24
        .size:           8
        .value_kind:     by_value
      - .offset:         32
        .size:           4
        .value_kind:     hidden_block_count_x
      - .offset:         36
        .size:           4
        .value_kind:     hidden_block_count_y
      - .offset:         40
        .size:           4
        .value_kind:     hidden_block_count_z
      - .offset:         44
        .size:           2
        .value_kind:     hidden_group_size_x
      - .offset:         46
        .size:           2
        .value_kind:     hidden_group_size_y
      - .offset:         48
        .size:           2
        .value_kind:     hidden_group_size_z
      - .offset:         50
        .size:           2
        .value_kind:     hidden_remainder_x
      - .offset:         52
        .size:           2
        .value_kind:     hidden_remainder_y
      - .offset:         54
        .size:           2
        .value_kind:     hidden_remainder_z
      - .offset:         72
        .size:           8
        .value_kind:     hidden_global_offset_x
      - .offset:         80
        .size:           8
        .value_kind:     hidden_global_offset_y
      - .offset:         88
        .size:           8
        .value_kind:     hidden_global_offset_z
      - .offset:         96
        .size:           2
        .value_kind:     hidden_grid_dims
    .group_segment_fixed_size: 0
    .kernarg_segment_align: 8
    .kernarg_segment_size: 288
    .language:       OpenCL C
    .language_version:
      - 2
      - 0
    .max_flat_workgroup_size: 1024
    .name:           _Z20Type_to_fp8_fnuz_cvtIfLb1EEvPT_PfS2_m
    .private_segment_fixed_size: 0
    .sgpr_count:     18
    .sgpr_spill_count: 0
    .symbol:         _Z20Type_to_fp8_fnuz_cvtIfLb1EEvPT_PfS2_m.kd
    .uniform_work_group_size: 1
    .uses_dynamic_stack: false
    .vgpr_count:     6
    .vgpr_spill_count: 0
    .wavefront_size: 64
  - .agpr_count:     0
    .args:
      - .address_space:  global
        .offset:         0
        .size:           8
        .value_kind:     global_buffer
      - .address_space:  global
        .offset:         8
        .size:           8
        .value_kind:     global_buffer
      - .address_space:  global
        .offset:         16
        .size:           8
        .value_kind:     global_buffer
      - .offset:         24
        .size:           8
        .value_kind:     by_value
      - .offset:         32
        .size:           4
        .value_kind:     hidden_block_count_x
      - .offset:         36
        .size:           4
        .value_kind:     hidden_block_count_y
      - .offset:         40
        .size:           4
        .value_kind:     hidden_block_count_z
      - .offset:         44
        .size:           2
        .value_kind:     hidden_group_size_x
      - .offset:         46
        .size:           2
        .value_kind:     hidden_group_size_y
      - .offset:         48
        .size:           2
        .value_kind:     hidden_group_size_z
      - .offset:         50
        .size:           2
        .value_kind:     hidden_remainder_x
      - .offset:         52
        .size:           2
        .value_kind:     hidden_remainder_y
      - .offset:         54
        .size:           2
        .value_kind:     hidden_remainder_z
      - .offset:         72
        .size:           8
        .value_kind:     hidden_global_offset_x
      - .offset:         80
        .size:           8
        .value_kind:     hidden_global_offset_y
      - .offset:         88
        .size:           8
        .value_kind:     hidden_global_offset_z
      - .offset:         96
        .size:           2
        .value_kind:     hidden_grid_dims
    .group_segment_fixed_size: 0
    .kernarg_segment_align: 8
    .kernarg_segment_size: 288
    .language:       OpenCL C
    .language_version:
      - 2
      - 0
    .max_flat_workgroup_size: 1024
    .name:           _Z20Type_to_fp8_fnuz_cvtIfLb0EEvPT_PfS2_m
    .private_segment_fixed_size: 0
    .sgpr_count:     18
    .sgpr_spill_count: 0
    .symbol:         _Z20Type_to_fp8_fnuz_cvtIfLb0EEvPT_PfS2_m.kd
    .uniform_work_group_size: 1
    .uses_dynamic_stack: false
    .vgpr_count:     6
    .vgpr_spill_count: 0
    .wavefront_size: 64
  - .agpr_count:     0
    .args:
      - .address_space:  global
        .offset:         0
        .size:           8
        .value_kind:     global_buffer
      - .address_space:  global
        .offset:         8
        .size:           8
        .value_kind:     global_buffer
      - .address_space:  global
        .offset:         16
        .size:           8
        .value_kind:     global_buffer
      - .offset:         24
        .size:           8
        .value_kind:     by_value
      - .offset:         32
        .size:           4
        .value_kind:     hidden_block_count_x
      - .offset:         36
        .size:           4
        .value_kind:     hidden_block_count_y
      - .offset:         40
        .size:           4
        .value_kind:     hidden_block_count_z
      - .offset:         44
        .size:           2
        .value_kind:     hidden_group_size_x
      - .offset:         46
        .size:           2
        .value_kind:     hidden_group_size_y
      - .offset:         48
        .size:           2
        .value_kind:     hidden_group_size_z
      - .offset:         50
        .size:           2
        .value_kind:     hidden_remainder_x
      - .offset:         52
        .size:           2
        .value_kind:     hidden_remainder_y
      - .offset:         54
        .size:           2
        .value_kind:     hidden_remainder_z
      - .offset:         72
        .size:           8
        .value_kind:     hidden_global_offset_x
      - .offset:         80
        .size:           8
        .value_kind:     hidden_global_offset_y
      - .offset:         88
        .size:           8
        .value_kind:     hidden_global_offset_z
      - .offset:         96
        .size:           2
        .value_kind:     hidden_grid_dims
    .group_segment_fixed_size: 0
    .kernarg_segment_align: 8
    .kernarg_segment_size: 288
    .language:       OpenCL C
    .language_version:
      - 2
      - 0
    .max_flat_workgroup_size: 1024
    .name:           _Z20Type_to_fp8_fnuz_cvtIdLb1EEvPT_PfS2_m
    .private_segment_fixed_size: 0
    .sgpr_count:     18
    .sgpr_spill_count: 0
    .symbol:         _Z20Type_to_fp8_fnuz_cvtIdLb1EEvPT_PfS2_m.kd
    .uniform_work_group_size: 1
    .uses_dynamic_stack: false
    .vgpr_count:     18
    .vgpr_spill_count: 0
    .wavefront_size: 64
  - .agpr_count:     0
    .args:
      - .address_space:  global
        .offset:         0
        .size:           8
        .value_kind:     global_buffer
      - .address_space:  global
        .offset:         8
        .size:           8
        .value_kind:     global_buffer
      - .address_space:  global
        .offset:         16
        .size:           8
        .value_kind:     global_buffer
      - .offset:         24
        .size:           8
        .value_kind:     by_value
      - .offset:         32
        .size:           4
        .value_kind:     hidden_block_count_x
      - .offset:         36
        .size:           4
        .value_kind:     hidden_block_count_y
      - .offset:         40
        .size:           4
        .value_kind:     hidden_block_count_z
      - .offset:         44
        .size:           2
        .value_kind:     hidden_group_size_x
      - .offset:         46
        .size:           2
        .value_kind:     hidden_group_size_y
      - .offset:         48
        .size:           2
        .value_kind:     hidden_group_size_z
      - .offset:         50
        .size:           2
        .value_kind:     hidden_remainder_x
      - .offset:         52
        .size:           2
        .value_kind:     hidden_remainder_y
      - .offset:         54
        .size:           2
        .value_kind:     hidden_remainder_z
      - .offset:         72
        .size:           8
        .value_kind:     hidden_global_offset_x
      - .offset:         80
        .size:           8
        .value_kind:     hidden_global_offset_y
      - .offset:         88
        .size:           8
        .value_kind:     hidden_global_offset_z
      - .offset:         96
        .size:           2
        .value_kind:     hidden_grid_dims
    .group_segment_fixed_size: 0
    .kernarg_segment_align: 8
    .kernarg_segment_size: 288
    .language:       OpenCL C
    .language_version:
      - 2
      - 0
    .max_flat_workgroup_size: 1024
    .name:           _Z20Type_to_fp8_fnuz_cvtIdLb0EEvPT_PfS2_m
    .private_segment_fixed_size: 0
    .sgpr_count:     18
    .sgpr_spill_count: 0
    .symbol:         _Z20Type_to_fp8_fnuz_cvtIdLb0EEvPT_PfS2_m.kd
    .uniform_work_group_size: 1
    .uses_dynamic_stack: false
    .vgpr_count:     18
    .vgpr_spill_count: 0
    .wavefront_size: 64
amdhsa.target:   amdgcn-amd-amdhsa--gfx942
amdhsa.version:
  - 1
  - 2
...

	.end_amdgpu_metadata
